;; amdgpu-corpus repo=ROCm/rocFFT kind=compiled arch=gfx906 opt=O3
	.text
	.amdgcn_target "amdgcn-amd-amdhsa--gfx906"
	.amdhsa_code_object_version 6
	.protected	bluestein_single_fwd_len714_dim1_sp_op_CI_CI ; -- Begin function bluestein_single_fwd_len714_dim1_sp_op_CI_CI
	.globl	bluestein_single_fwd_len714_dim1_sp_op_CI_CI
	.p2align	8
	.type	bluestein_single_fwd_len714_dim1_sp_op_CI_CI,@function
bluestein_single_fwd_len714_dim1_sp_op_CI_CI: ; @bluestein_single_fwd_len714_dim1_sp_op_CI_CI
; %bb.0:
	s_load_dwordx4 s[12:15], s[4:5], 0x28
	s_mov_b64 s[30:31], s[2:3]
	v_mul_u32_u24_e32 v1, 0x506, v0
	s_mov_b64 s[28:29], s[0:1]
	v_add_u32_sdwa v198, s6, v1 dst_sel:DWORD dst_unused:UNUSED_PAD src0_sel:DWORD src1_sel:WORD_1
	v_mov_b32_e32 v199, 0
	s_add_u32 s28, s28, s7
	s_waitcnt lgkmcnt(0)
	v_cmp_gt_u64_e32 vcc, s[12:13], v[198:199]
	s_addc_u32 s29, s29, 0
	s_and_saveexec_b64 s[0:1], vcc
	s_cbranch_execz .LBB0_23
; %bb.1:
	s_load_dwordx4 s[0:3], s[4:5], 0x18
	s_load_dwordx2 s[16:17], s[4:5], 0x0
	v_mov_b32_e32 v2, 51
	v_mul_lo_u16_sdwa v1, v1, v2 dst_sel:DWORD dst_unused:UNUSED_PAD src0_sel:WORD_1 src1_sel:DWORD
	v_sub_u16_e32 v130, v0, v1
	s_waitcnt lgkmcnt(0)
	s_load_dwordx4 s[8:11], s[0:1], 0x0
	v_lshlrev_b32_e32 v129, 3, v130
	v_add_co_u32_e64 v78, s[6:7], s16, v129
	global_load_dwordx2 v[97:98], v129, s[16:17] offset:3808
	s_waitcnt lgkmcnt(0)
	v_mad_u64_u32 v[0:1], s[0:1], s10, v198, 0
	v_mad_u64_u32 v[2:3], s[0:1], s8, v130, 0
	;; [unrolled: 1-line block ×4, first 2 shown]
	v_mov_b32_e32 v1, v4
	v_lshlrev_b64 v[0:1], 3, v[0:1]
	v_mov_b32_e32 v6, s15
	v_mov_b32_e32 v3, v5
	v_add_co_u32_e32 v4, vcc, s14, v0
	v_addc_co_u32_e32 v5, vcc, v6, v1, vcc
	v_lshlrev_b64 v[0:1], 3, v[2:3]
	s_mul_i32 s0, s9, 0xee
	s_mul_hi_u32 s1, s8, 0xee
	v_add_co_u32_e32 v0, vcc, v4, v0
	v_mov_b32_e32 v2, s17
	s_add_i32 s1, s1, s0
	s_mul_i32 s0, s8, 0xee
	v_addc_co_u32_e32 v1, vcc, v5, v1, vcc
	v_addc_co_u32_e64 v79, vcc, 0, v2, s[6:7]
	s_lshl_b64 s[14:15], s[0:1], 3
	v_mov_b32_e32 v26, s15
	v_add_co_u32_e32 v2, vcc, s14, v0
	s_mul_hi_u32 s1, s8, 0xfffffe57
	v_addc_co_u32_e32 v3, vcc, v1, v26, vcc
	s_mul_i32 s0, s9, 0xfffffe57
	s_sub_i32 s1, s1, s8
	v_add_co_u32_e32 v4, vcc, s14, v2
	s_add_i32 s1, s1, s0
	s_mul_i32 s0, s8, 0xfffffe57
	v_addc_co_u32_e32 v5, vcc, v3, v26, vcc
	s_lshl_b64 s[18:19], s[0:1], 3
	v_mov_b32_e32 v22, s19
	v_add_co_u32_e32 v6, vcc, s18, v4
	v_addc_co_u32_e32 v7, vcc, v5, v22, vcc
	global_load_dwordx2 v[8:9], v[0:1], off
	global_load_dwordx2 v[10:11], v[2:3], off
	;; [unrolled: 1-line block ×4, first 2 shown]
	global_load_dwordx2 v[103:104], v129, s[16:17]
	global_load_dwordx2 v[99:100], v129, s[16:17] offset:408
	v_add_co_u32_e32 v0, vcc, s14, v6
	v_addc_co_u32_e32 v1, vcc, v7, v26, vcc
	global_load_dwordx2 v[101:102], v129, s[16:17] offset:1904
	global_load_dwordx2 v[2:3], v[0:1], off
	global_load_dwordx2 v[94:95], v129, s[16:17] offset:2312
	v_add_co_u32_e32 v0, vcc, s14, v0
	v_addc_co_u32_e32 v1, vcc, v1, v26, vcc
	s_movk_i32 s0, 0x1000
	v_add_co_u32_e32 v6, vcc, s0, v78
	v_addc_co_u32_e32 v7, vcc, 0, v79, vcc
	global_load_dwordx2 v[4:5], v[0:1], off
	v_add_co_u32_e32 v0, vcc, s18, v0
	v_addc_co_u32_e32 v1, vcc, v1, v22, vcc
	global_load_dwordx2 v[92:93], v[6:7], off offset:120
	global_load_dwordx2 v[16:17], v[0:1], off
	global_load_dwordx2 v[90:91], v129, s[16:17] offset:816
	v_add_co_u32_e32 v0, vcc, s14, v0
	v_addc_co_u32_e32 v1, vcc, v1, v26, vcc
	global_load_dwordx2 v[18:19], v[0:1], off
	global_load_dwordx2 v[88:89], v129, s[16:17] offset:2720
	v_add_co_u32_e32 v0, vcc, s14, v0
	v_addc_co_u32_e32 v1, vcc, v1, v26, vcc
	global_load_dwordx2 v[20:21], v[0:1], off
	global_load_dwordx2 v[86:87], v[6:7], off offset:528
	v_add_co_u32_e32 v0, vcc, s18, v0
	v_addc_co_u32_e32 v1, vcc, v1, v22, vcc
	global_load_dwordx2 v[22:23], v[0:1], off
	global_load_dwordx2 v[84:85], v129, s[16:17] offset:1224
	v_add_co_u32_e32 v0, vcc, s14, v0
	v_addc_co_u32_e32 v1, vcc, v1, v26, vcc
	global_load_dwordx2 v[24:25], v[0:1], off
	global_load_dwordx2 v[82:83], v129, s[16:17] offset:3128
	v_add_co_u32_e32 v0, vcc, s14, v0
	v_addc_co_u32_e32 v1, vcc, v1, v26, vcc
	global_load_dwordx2 v[26:27], v[0:1], off
	global_load_dwordx2 v[80:81], v[6:7], off offset:936
	s_load_dwordx2 s[12:13], s[4:5], 0x38
	s_load_dwordx4 s[8:11], s[2:3], 0x0
	v_cmp_gt_u16_e64 s[0:1], 34, v130
	s_waitcnt vmcnt(18)
	v_mul_f32_e32 v6, v9, v104
	v_mul_f32_e32 v7, v8, v104
	v_fmac_f32_e32 v6, v8, v103
	v_fma_f32 v7, v9, v103, -v7
	s_waitcnt vmcnt(16)
	v_mul_f32_e32 v8, v11, v102
	v_mul_f32_e32 v9, v10, v102
	v_fmac_f32_e32 v8, v10, v101
	v_fma_f32 v9, v11, v101, -v9
	ds_write_b64 v129, v[8:9] offset:1904
	v_mul_f32_e32 v8, v13, v98
	v_mul_f32_e32 v9, v12, v98
	v_fmac_f32_e32 v8, v12, v97
	v_fma_f32 v9, v13, v97, -v9
	ds_write_b64 v129, v[8:9] offset:3808
	v_mul_f32_e32 v8, v15, v100
	v_mul_f32_e32 v9, v14, v100
	v_fmac_f32_e32 v8, v14, v99
	v_fma_f32 v9, v15, v99, -v9
	ds_write2_b64 v129, v[6:7], v[8:9] offset1:51
	s_waitcnt vmcnt(14)
	v_mul_f32_e32 v6, v3, v95
	v_fmac_f32_e32 v6, v2, v94
	v_mul_f32_e32 v2, v2, v95
	v_fma_f32 v7, v3, v94, -v2
	s_waitcnt vmcnt(12)
	v_mul_f32_e32 v2, v4, v93
	v_fma_f32 v9, v5, v92, -v2
	s_waitcnt vmcnt(10)
	v_mul_f32_e32 v2, v16, v91
	v_mul_f32_e32 v8, v5, v93
	v_fma_f32 v11, v17, v90, -v2
	s_waitcnt vmcnt(8)
	v_mul_f32_e32 v3, v19, v89
	v_mul_f32_e32 v2, v18, v89
	v_fmac_f32_e32 v8, v4, v92
	v_fmac_f32_e32 v3, v18, v88
	v_fma_f32 v4, v19, v88, -v2
	v_add_u32_e32 v2, 0x800, v129
	ds_write2_b64 v2, v[6:7], v[3:4] offset0:33 offset1:84
	s_waitcnt vmcnt(6)
	v_mul_f32_e32 v5, v21, v87
	v_mul_f32_e32 v3, v20, v87
	v_fmac_f32_e32 v5, v20, v86
	v_fma_f32 v6, v21, v86, -v3
	v_add_u32_e32 v4, 0x1000, v129
	v_mul_f32_e32 v10, v17, v91
	ds_write2_b64 v4, v[8:9], v[5:6] offset0:15 offset1:66
	s_waitcnt vmcnt(4)
	v_mul_f32_e32 v5, v23, v85
	v_mul_f32_e32 v3, v22, v85
	v_fmac_f32_e32 v10, v16, v90
	v_fmac_f32_e32 v5, v22, v84
	v_fma_f32 v6, v23, v84, -v3
	ds_write2_b64 v129, v[10:11], v[5:6] offset0:102 offset1:153
	s_waitcnt vmcnt(2)
	v_mul_f32_e32 v5, v25, v83
	v_mul_f32_e32 v3, v24, v83
	v_fmac_f32_e32 v5, v24, v82
	v_fma_f32 v6, v25, v82, -v3
	ds_write_b64 v129, v[5:6] offset:3128
	s_waitcnt vmcnt(0)
	v_mul_f32_e32 v5, v27, v81
	v_mul_f32_e32 v3, v26, v81
	v_fmac_f32_e32 v5, v26, v80
	v_fma_f32 v6, v27, v80, -v3
	ds_write_b64 v129, v[5:6] offset:5032
	s_and_saveexec_b64 s[2:3], s[0:1]
	s_cbranch_execz .LBB0_3
; %bb.2:
	v_mov_b32_e32 v3, s19
	v_add_co_u32_e32 v0, vcc, s18, v0
	v_addc_co_u32_e32 v1, vcc, v1, v3, vcc
	global_load_dwordx2 v[5:6], v[0:1], off
	v_mov_b32_e32 v3, s15
	v_add_co_u32_e32 v0, vcc, s14, v0
	v_addc_co_u32_e32 v1, vcc, v1, v3, vcc
	global_load_dwordx2 v[7:8], v[0:1], off
	global_load_dwordx2 v[9:10], v[78:79], off offset:1632
	global_load_dwordx2 v[11:12], v[78:79], off offset:3536
	v_add_co_u32_e32 v0, vcc, s14, v0
	v_addc_co_u32_e32 v1, vcc, v1, v3, vcc
	v_add_co_u32_e32 v13, vcc, 0x1000, v78
	v_addc_co_u32_e32 v14, vcc, 0, v79, vcc
	global_load_dwordx2 v[15:16], v[13:14], off offset:1344
	global_load_dwordx2 v[17:18], v[0:1], off
	v_add_u32_e32 v3, 0x600, v129
	s_waitcnt vmcnt(3)
	v_mul_f32_e32 v0, v6, v10
	v_mul_f32_e32 v1, v5, v10
	v_fmac_f32_e32 v0, v5, v9
	v_fma_f32 v1, v6, v9, -v1
	s_waitcnt vmcnt(2)
	v_mul_f32_e32 v5, v8, v12
	v_mul_f32_e32 v6, v7, v12
	v_fmac_f32_e32 v5, v7, v11
	v_fma_f32 v6, v8, v11, -v6
	ds_write2_b64 v3, v[0:1], v[5:6] offset0:12 offset1:250
	s_waitcnt vmcnt(0)
	v_mul_f32_e32 v7, v18, v16
	v_mul_f32_e32 v8, v17, v16
	v_fmac_f32_e32 v7, v17, v15
	v_fma_f32 v8, v18, v15, -v8
	ds_write_b64 v129, v[7:8] offset:5440
.LBB0_3:
	s_or_b64 exec, exec, s[2:3]
	v_add_u32_e32 v0, 0x400, v129
	s_waitcnt lgkmcnt(0)
	; wave barrier
	s_waitcnt lgkmcnt(0)
	ds_read2_b64 v[8:11], v0 offset0:110 offset1:161
	v_add_u32_e32 v0, 0xc00, v129
	ds_read2_b64 v[36:39], v129 offset1:51
	ds_read2_b64 v[12:15], v0 offset0:92 offset1:143
	ds_read2_b64 v[40:43], v129 offset0:102 offset1:153
	;; [unrolled: 1-line block ×4, first 2 shown]
                                        ; implicit-def: $vgpr46
                                        ; implicit-def: $vgpr16
	s_and_saveexec_b64 s[2:3], s[0:1]
	s_cbranch_execz .LBB0_5
; %bb.4:
	v_add_u32_e32 v16, 0x600, v129
	ds_read2_b64 v[44:47], v16 offset0:12 offset1:250
	ds_read_b64 v[16:17], v129 offset:5440
.LBB0_5:
	s_or_b64 exec, exec, s[2:3]
	s_waitcnt lgkmcnt(4)
	v_add_f32_e32 v22, v36, v8
	s_waitcnt lgkmcnt(3)
	v_add_f32_e32 v32, v22, v12
	v_add_f32_e32 v22, v8, v12
	v_fma_f32 v48, -0.5, v22, v36
	v_sub_f32_e32 v22, v9, v13
	v_mov_b32_e32 v34, v48
	v_fmac_f32_e32 v34, 0x3f5db3d7, v22
	v_fmac_f32_e32 v48, 0xbf5db3d7, v22
	v_add_f32_e32 v22, v37, v9
	v_add_f32_e32 v9, v9, v13
	v_fma_f32 v49, -0.5, v9, v37
	v_sub_f32_e32 v8, v8, v12
	v_mov_b32_e32 v35, v49
	v_fmac_f32_e32 v35, 0xbf5db3d7, v8
	v_fmac_f32_e32 v49, 0x3f5db3d7, v8
	v_add_f32_e32 v8, v38, v10
	v_add_f32_e32 v36, v8, v14
	;; [unrolled: 1-line block ×3, first 2 shown]
	v_fma_f32 v38, -0.5, v8, v38
	v_sub_f32_e32 v8, v11, v15
	v_mov_b32_e32 v58, v38
	v_fmac_f32_e32 v58, 0x3f5db3d7, v8
	v_fmac_f32_e32 v38, 0xbf5db3d7, v8
	v_add_f32_e32 v8, v39, v11
	v_add_f32_e32 v37, v8, v15
	;; [unrolled: 1-line block ×3, first 2 shown]
	v_fmac_f32_e32 v39, -0.5, v8
	v_sub_f32_e32 v8, v10, v14
	v_mov_b32_e32 v59, v39
	v_fmac_f32_e32 v59, 0xbf5db3d7, v8
	v_fmac_f32_e32 v39, 0x3f5db3d7, v8
	s_waitcnt lgkmcnt(1)
	v_add_f32_e32 v8, v40, v0
	s_waitcnt lgkmcnt(0)
	v_add_f32_e32 v52, v8, v4
	v_add_f32_e32 v8, v0, v4
	v_fma_f32 v56, -0.5, v8, v40
	v_sub_f32_e32 v8, v1, v5
	v_mov_b32_e32 v54, v56
	v_fmac_f32_e32 v54, 0x3f5db3d7, v8
	v_fmac_f32_e32 v56, 0xbf5db3d7, v8
	v_add_f32_e32 v8, v41, v1
	v_add_f32_e32 v1, v1, v5
	v_fma_f32 v57, -0.5, v1, v41
	v_sub_f32_e32 v0, v0, v4
	v_mov_b32_e32 v55, v57
	v_fmac_f32_e32 v55, 0xbf5db3d7, v0
	v_fmac_f32_e32 v57, 0x3f5db3d7, v0
	v_add_f32_e32 v0, v42, v2
	v_add_f32_e32 v64, v0, v6
	;; [unrolled: 1-line block ×3, first 2 shown]
	v_fma_f32 v42, -0.5, v0, v42
	v_sub_f32_e32 v0, v3, v7
	v_mov_b32_e32 v40, v42
	v_fmac_f32_e32 v40, 0x3f5db3d7, v0
	v_fmac_f32_e32 v42, 0xbf5db3d7, v0
	v_add_f32_e32 v0, v43, v3
	v_add_f32_e32 v65, v0, v7
	v_add_f32_e32 v0, v3, v7
	v_fmac_f32_e32 v43, -0.5, v0
	v_sub_f32_e32 v0, v2, v6
	v_mov_b32_e32 v41, v43
	v_fmac_f32_e32 v41, 0xbf5db3d7, v0
	v_fmac_f32_e32 v43, 0x3f5db3d7, v0
	v_add_f32_e32 v0, v46, v44
	v_add_f32_e32 v60, v16, v0
	v_add_f32_e32 v0, v46, v16
	v_fmac_f32_e32 v44, -0.5, v0
	;; [unrolled: 8-line block ×3, first 2 shown]
	v_sub_f32_e32 v0, v46, v16
	v_mov_b32_e32 v63, v45
	s_load_dwordx2 s[4:5], s[4:5], 0x8
	v_add_u32_e32 v18, 51, v130
	v_fmac_f32_e32 v63, 0xbf5db3d7, v0
	v_fmac_f32_e32 v45, 0x3f5db3d7, v0
	v_mul_lo_u16_e32 v0, 3, v130
	v_add_u32_e32 v19, 0x66, v130
	v_lshlrev_b32_e32 v135, 3, v0
	v_mul_u32_u24_e32 v0, 3, v18
	v_add_u32_e32 v20, 0x99, v130
	v_lshlrev_b32_e32 v96, 3, v0
	v_mul_u32_u24_e32 v0, 3, v19
	v_add_co_u32_e32 v21, vcc, 0xcc, v130
	v_lshlrev_b32_e32 v136, 3, v0
	v_mul_u32_u24_e32 v0, 3, v20
	v_add_f32_e32 v33, v22, v13
	v_add_f32_e32 v53, v8, v5
	v_lshlrev_b32_e32 v179, 3, v0
	v_mul_u32_u24_e32 v181, 3, v21
	s_waitcnt lgkmcnt(0)
	; wave barrier
	s_waitcnt lgkmcnt(0)
	ds_write2_b64 v135, v[32:33], v[34:35] offset1:1
	ds_write_b64 v135, v[48:49] offset:16
	ds_write2_b64 v96, v[36:37], v[58:59] offset1:1
	ds_write_b64 v96, v[38:39] offset:16
	;; [unrolled: 2-line block ×4, first 2 shown]
	s_and_saveexec_b64 s[2:3], s[0:1]
	s_cbranch_execz .LBB0_7
; %bb.6:
	v_lshlrev_b32_e32 v0, 3, v181
	ds_write2_b64 v0, v[60:61], v[62:63] offset1:1
	ds_write_b64 v0, v[44:45] offset:16
.LBB0_7:
	s_or_b64 exec, exec, s[2:3]
	v_cmp_gt_u16_e64 s[2:3], 42, v130
	s_waitcnt lgkmcnt(0)
	; wave barrier
	s_waitcnt lgkmcnt(0)
                                        ; implicit-def: $vgpr66
	s_and_saveexec_b64 s[14:15], s[2:3]
	s_cbranch_execz .LBB0_9
; %bb.8:
	v_add_u32_e32 v0, 0x400, v129
	ds_read2_b64 v[32:35], v129 offset1:42
	ds_read2_b64 v[48:51], v129 offset0:84 offset1:126
	ds_read2_b64 v[36:39], v129 offset0:168 offset1:210
	;; [unrolled: 1-line block ×3, first 2 shown]
	v_add_u32_e32 v0, 0x800, v129
	ds_read2_b64 v[56:59], v0 offset0:80 offset1:122
	ds_read2_b64 v[40:43], v0 offset0:164 offset1:206
	v_add_u32_e32 v0, 0xc00, v129
	ds_read2_b64 v[60:63], v0 offset0:120 offset1:162
	v_add_u32_e32 v0, 0x1000, v129
	ds_read2_b64 v[44:47], v0 offset0:76 offset1:118
	ds_read_b64 v[66:67], v129 offset:5376
	s_waitcnt lgkmcnt(4)
	v_mov_b32_e32 v64, v58
	v_mov_b32_e32 v65, v59
	;; [unrolled: 1-line block ×6, first 2 shown]
.LBB0_9:
	s_or_b64 exec, exec, s[14:15]
	s_movk_i32 s14, 0xab
	v_mul_lo_u16_sdwa v0, v130, s14 dst_sel:DWORD dst_unused:UNUSED_PAD src0_sel:BYTE_0 src1_sel:DWORD
	v_lshrrev_b16_e32 v194, 9, v0
	v_mul_lo_u16_e32 v0, 3, v194
	v_sub_u16_e32 v0, v130, v0
	v_and_b32_e32 v195, 0xff, v0
	v_lshlrev_b32_e32 v50, 7, v195
	global_load_dwordx4 v[20:23], v50, s[4:5]
	global_load_dwordx4 v[12:15], v50, s[4:5] offset:16
	global_load_dwordx4 v[4:7], v50, s[4:5] offset:32
	global_load_dwordx4 v[0:3], v50, s[4:5] offset:48
	global_load_dwordx4 v[8:11], v50, s[4:5] offset:64
	global_load_dwordx4 v[16:19], v50, s[4:5] offset:80
	global_load_dwordx4 v[24:27], v50, s[4:5] offset:96
	global_load_dwordx4 v[28:31], v50, s[4:5] offset:112
	s_mov_b32 s16, 0x3f6eb680
	s_mov_b32 s18, 0x3f3d2fb0
	;; [unrolled: 1-line block ×8, first 2 shown]
	s_waitcnt lgkmcnt(0)
	; wave barrier
	s_waitcnt vmcnt(7) lgkmcnt(0)
	v_mul_f32_e32 v68, v34, v21
	v_mul_f32_e32 v50, v48, v23
	v_fmac_f32_e32 v68, v35, v20
	s_waitcnt vmcnt(4)
	v_mul_f32_e32 v70, v54, v1
	s_waitcnt vmcnt(3)
	v_mul_f32_e32 v117, v65, v9
	v_mul_f32_e32 v110, v35, v21
	;; [unrolled: 1-line block ×3, first 2 shown]
	s_waitcnt vmcnt(0)
	v_mul_f32_e32 v109, v66, v31
	v_mul_f32_e32 v107, v46, v29
	v_fmac_f32_e32 v109, v67, v30
	v_mul_f32_e32 v112, v39, v5
	v_mul_f32_e32 v114, v55, v1
	;; [unrolled: 1-line block ×5, first 2 shown]
	v_fmac_f32_e32 v50, v49, v22
	v_fmac_f32_e32 v70, v55, v0
	v_fma_f32 v55, v64, v8, -v117
	v_fmac_f32_e32 v107, v47, v28
	v_sub_f32_e32 v117, v68, v109
	v_mul_f32_e32 v51, v38, v5
	v_mul_f32_e32 v72, v36, v13
	;; [unrolled: 1-line block ×8, first 2 shown]
	v_fma_f32 v108, v48, v22, -v108
	v_fma_f32 v48, v38, v4, -v112
	v_fmac_f32_e32 v75, v59, v14
	v_fma_f32 v59, v34, v20, -v110
	v_fmac_f32_e32 v106, v45, v26
	v_fma_f32 v45, v66, v30, -v124
	v_sub_f32_e32 v128, v50, v107
	v_mul_f32_e32 v38, 0xbeb8f4ab, v117
	v_mul_f32_e32 v111, v37, v13
	;; [unrolled: 1-line block ×3, first 2 shown]
	v_fmac_f32_e32 v71, v57, v2
	v_fmac_f32_e32 v72, v37, v12
	v_fma_f32 v57, v58, v14, -v115
	v_fma_f32 v58, v40, v10, -v121
	v_fmac_f32_e32 v105, v41, v10
	v_fma_f32 v41, v44, v26, -v122
	v_fma_f32 v44, v46, v28, -v123
	v_add_f32_e32 v40, v59, v45
	v_mul_f32_e32 v37, 0xbf2c7751, v128
	v_mov_b32_e32 v34, v38
	v_add_f32_e32 v47, v108, v44
	v_sub_f32_e32 v144, v59, v45
	v_mov_b32_e32 v35, v37
	v_fmac_f32_e32 v34, 0x3f6eb680, v40
	v_mul_f32_e32 v69, v52, v7
	v_mul_f32_e32 v73, v42, v17
	;; [unrolled: 1-line block ×3, first 2 shown]
	v_fmac_f32_e32 v51, v39, v4
	v_add_f32_e32 v46, v68, v109
	v_mul_f32_e32 v39, 0xbeb8f4ab, v144
	v_fmac_f32_e32 v35, 0x3f3d2fb0, v47
	v_add_f32_e32 v34, v32, v34
	v_sub_f32_e32 v147, v108, v44
	v_mul_f32_e32 v113, v53, v7
	v_mul_f32_e32 v118, v43, v17
	;; [unrolled: 1-line block ×3, first 2 shown]
	v_fmac_f32_e32 v69, v53, v6
	v_fma_f32 v53, v56, v2, -v116
	v_fmac_f32_e32 v73, v43, v16
	v_fma_f32 v43, v60, v18, -v119
	v_fma_f32 v56, v36, v12, -v111
	v_add_f32_e32 v34, v35, v34
	v_fma_f32 v35, v46, s16, -v39
	v_add_f32_e32 v60, v50, v107
	v_mul_f32_e32 v111, 0xbf2c7751, v147
	v_sub_f32_e32 v143, v72, v106
	v_mul_f32_e32 v76, v62, v25
	v_add_f32_e32 v35, v33, v35
	v_fma_f32 v36, v60, s18, -v111
	v_mul_f32_e32 v112, 0xbf65296c, v143
	v_fmac_f32_e32 v74, v61, v18
	v_fmac_f32_e32 v76, v63, v24
	v_add_f32_e32 v35, v36, v35
	v_add_f32_e32 v61, v56, v41
	v_mov_b32_e32 v36, v112
	v_sub_f32_e32 v150, v56, v41
	v_mul_f32_e32 v120, v63, v25
	v_fmac_f32_e32 v36, 0x3ee437d1, v61
	v_add_f32_e32 v63, v72, v106
	v_mul_f32_e32 v115, 0xbf65296c, v150
	v_sub_f32_e32 v148, v75, v76
	v_fma_f32 v49, v52, v6, -v113
	v_fma_f32 v52, v54, v0, -v114
	;; [unrolled: 1-line block ×3, first 2 shown]
	v_add_f32_e32 v34, v36, v34
	v_fma_f32 v36, v63, s19, -v115
	v_mul_f32_e32 v116, 0xbf7ee86f, v148
	v_add_f32_e32 v35, v36, v35
	v_add_f32_e32 v62, v57, v54
	v_mov_b32_e32 v36, v116
	v_sub_f32_e32 v154, v57, v54
	v_fmac_f32_e32 v36, 0x3dbcf732, v62
	v_add_f32_e32 v110, v75, v76
	v_mul_f32_e32 v126, 0xbf7ee86f, v154
	v_sub_f32_e32 v152, v51, v74
	v_add_f32_e32 v34, v36, v34
	v_fma_f32 v36, v110, s20, -v126
	v_mul_f32_e32 v127, 0xbf763a35, v152
	v_add_f32_e32 v35, v36, v35
	v_add_f32_e32 v66, v48, v43
	v_mov_b32_e32 v36, v127
	v_sub_f32_e32 v156, v48, v43
	v_fmac_f32_e32 v36, 0xbe8c1d8e, v66
	v_add_f32_e32 v114, v51, v74
	v_mul_f32_e32 v140, 0xbf763a35, v156
	v_sub_f32_e32 v155, v69, v73
	v_fma_f32 v42, v42, v16, -v118
	v_add_f32_e32 v34, v36, v34
	v_fma_f32 v36, v114, s21, -v140
	v_mul_f32_e32 v141, 0xbf4c4adb, v155
	v_add_f32_e32 v35, v36, v35
	v_add_f32_e32 v113, v49, v42
	v_mov_b32_e32 v36, v141
	v_sub_f32_e32 v163, v49, v42
	v_fmac_f32_e32 v36, 0xbf1a4643, v113
	v_add_f32_e32 v125, v69, v73
	v_mul_f32_e32 v145, 0xbf4c4adb, v163
	v_sub_f32_e32 v160, v70, v105
	v_mul_f32_e32 v77, v64, v9
	v_add_f32_e32 v34, v36, v34
	v_fma_f32 v36, v125, s22, -v145
	v_mul_f32_e32 v146, 0xbf06c442, v160
	v_fmac_f32_e32 v77, v65, v8
	v_add_f32_e32 v35, v36, v35
	v_add_f32_e32 v118, v52, v58
	v_mov_b32_e32 v36, v146
	v_sub_f32_e32 v174, v52, v58
	v_fmac_f32_e32 v36, 0xbf59a7d5, v118
	v_add_f32_e32 v139, v70, v105
	v_mul_f32_e32 v149, 0xbf06c442, v174
	v_sub_f32_e32 v172, v71, v77
	v_add_f32_e32 v34, v36, v34
	v_fma_f32 v36, v139, s23, -v149
	v_mul_f32_e32 v151, 0xbe3c28d5, v172
	v_add_f32_e32 v35, v36, v35
	v_add_f32_e32 v138, v53, v55
	v_mov_b32_e32 v36, v151
	v_sub_f32_e32 v177, v53, v55
	v_fmac_f32_e32 v36, 0xbf7ba420, v138
	v_add_f32_e32 v142, v71, v77
	v_mul_f32_e32 v153, 0xbe3c28d5, v177
	v_add_f32_e32 v119, v36, v34
	v_fma_f32 v34, v142, s24, -v153
	v_mul_f32_e32 v157, 0xbf2c7751, v117
	v_add_f32_e32 v120, v34, v35
	v_mov_b32_e32 v34, v157
	v_mul_f32_e32 v158, 0xbf7ee86f, v128
	v_fmac_f32_e32 v34, 0x3f3d2fb0, v40
	v_mov_b32_e32 v35, v158
	v_add_f32_e32 v34, v32, v34
	v_fmac_f32_e32 v35, 0x3dbcf732, v47
	v_mul_f32_e32 v164, 0xbf2c7751, v144
	v_add_f32_e32 v34, v35, v34
	v_fma_f32 v35, v46, s18, -v164
	v_mul_f32_e32 v165, 0xbf7ee86f, v147
	v_add_f32_e32 v35, v33, v35
	v_fma_f32 v36, v60, s20, -v165
	v_mul_f32_e32 v159, 0xbf4c4adb, v143
	v_add_f32_e32 v35, v36, v35
	v_mov_b32_e32 v36, v159
	v_fmac_f32_e32 v36, 0xbf1a4643, v61
	v_mul_f32_e32 v167, 0xbf4c4adb, v150
	v_add_f32_e32 v34, v36, v34
	v_fma_f32 v36, v63, s22, -v167
	v_mul_f32_e32 v161, 0xbe3c28d5, v148
	v_add_f32_e32 v35, v36, v35
	v_mov_b32_e32 v36, v161
	v_fmac_f32_e32 v36, 0xbf7ba420, v62
	;; [unrolled: 7-line block ×6, first 2 shown]
	v_mul_f32_e32 v176, 0x3eb8f4ab, v177
	v_add_f32_e32 v121, v36, v34
	v_fma_f32 v34, v142, s16, -v176
	v_mul_f32_e32 v178, 0xbf65296c, v117
	v_add_f32_e32 v122, v34, v35
	v_mov_b32_e32 v34, v178
	v_mul_f32_e32 v180, 0xbf4c4adb, v128
	v_fmac_f32_e32 v34, 0x3ee437d1, v40
	v_mov_b32_e32 v35, v180
	v_add_f32_e32 v34, v32, v34
	v_fmac_f32_e32 v35, 0xbf1a4643, v47
	v_mul_f32_e32 v191, 0xbf65296c, v144
	v_add_f32_e32 v34, v35, v34
	v_fma_f32 v35, v46, s19, -v191
	v_mul_f32_e32 v192, 0xbf4c4adb, v147
	v_add_f32_e32 v35, v33, v35
	v_fma_f32 v36, v60, s22, -v192
	v_mul_f32_e32 v183, 0x3e3c28d5, v143
	v_add_f32_e32 v35, v36, v35
	v_mov_b32_e32 v36, v183
	v_fmac_f32_e32 v36, 0xbf7ba420, v61
	v_mul_f32_e32 v196, 0x3e3c28d5, v150
	v_add_f32_e32 v34, v36, v34
	v_fma_f32 v36, v63, s24, -v196
	v_mul_f32_e32 v185, 0x3f763a35, v148
	v_add_f32_e32 v35, v36, v35
	v_mov_b32_e32 v36, v185
	v_fmac_f32_e32 v36, 0xbe8c1d8e, v62
	;; [unrolled: 7-line block ×6, first 2 shown]
	v_mul_f32_e32 v216, 0xbf06c442, v177
	v_add_f32_e32 v123, v36, v34
	v_fma_f32 v34, v142, s23, -v216
	v_add_f32_e32 v124, v34, v35
	s_and_saveexec_b64 s[14:15], s[2:3]
	s_cbranch_execz .LBB0_11
; %bb.10:
	v_mul_f32_e32 v241, 0xbe8c1d8e, v46
	v_mov_b32_e32 v34, v241
	v_mul_f32_e32 v242, 0xbf59a7d5, v60
	v_fmac_f32_e32 v34, 0x3f763a35, v144
	v_mov_b32_e32 v35, v242
	v_add_f32_e32 v34, v33, v34
	v_fmac_f32_e32 v35, 0xbf06c442, v147
	v_mul_f32_e32 v251, 0x3f3d2fb0, v63
	v_add_f32_e32 v34, v35, v34
	v_mov_b32_e32 v35, v251
	v_fmac_f32_e32 v35, 0xbf2c7751, v150
	v_mul_f32_e32 v252, 0x3ee437d1, v110
	v_add_f32_e32 v34, v35, v34
	v_mov_b32_e32 v35, v252
	;; [unrolled: 4-line block ×7, first 2 shown]
	v_mul_f32_e32 v132, 0x3f06c442, v128
	v_fmac_f32_e32 v34, 0xbe8c1d8e, v40
	v_mov_b32_e32 v36, v132
	v_add_f32_e32 v34, v32, v34
	v_fmac_f32_e32 v36, 0xbf59a7d5, v47
	v_mul_f32_e32 v133, 0x3f2c7751, v143
	v_add_f32_e32 v34, v36, v34
	v_mov_b32_e32 v36, v133
	v_fmac_f32_e32 v36, 0x3f3d2fb0, v61
	buffer_store_dword v179, off, s[28:31], 0 ; 4-byte Folded Spill
	v_mul_f32_e32 v179, 0xbf65296c, v148
	v_add_f32_e32 v34, v36, v34
	v_mov_b32_e32 v36, v179
	v_fmac_f32_e32 v36, 0x3ee437d1, v62
	buffer_store_dword v181, off, s[28:31], 0 offset:4 ; 4-byte Folded Spill
	v_mul_f32_e32 v181, 0xbe3c28d5, v152
	v_add_f32_e32 v34, v36, v34
	v_mov_b32_e32 v36, v181
	v_fmac_f32_e32 v36, 0xbf7ba420, v66
	v_mul_f32_e32 v182, 0x3f7ee86f, v155
	v_add_f32_e32 v34, v36, v34
	v_mov_b32_e32 v36, v182
	v_fmac_f32_e32 v36, 0x3dbcf732, v113
	;; [unrolled: 4-line block ×4, first 2 shown]
	v_mul_f32_e32 v239, 0xbf1a4643, v46
	v_add_f32_e32 v34, v36, v34
	v_mov_b32_e32 v36, v239
	v_mul_f32_e32 v240, 0xbe8c1d8e, v60
	v_fmac_f32_e32 v36, 0x3f4c4adb, v144
	buffer_store_dword v37, off, s[28:31], 0 offset:8 ; 4-byte Folded Spill
	v_mov_b32_e32 v37, v240
	v_add_f32_e32 v36, v33, v36
	v_fmac_f32_e32 v37, 0xbf763a35, v147
	v_mul_f32_e32 v187, 0x3f6eb680, v63
	v_add_f32_e32 v36, v37, v36
	v_mov_b32_e32 v37, v187
	v_fmac_f32_e32 v37, 0x3eb8f4ab, v150
	v_mul_f32_e32 v189, 0xbf59a7d5, v110
	v_add_f32_e32 v36, v37, v36
	v_mov_b32_e32 v37, v189
	v_fmac_f32_e32 v37, 0x3f06c442, v154
	v_mul_f32_e32 v190, 0x3dbcf732, v114
	v_add_f32_e32 v36, v37, v36
	v_mov_b32_e32 v37, v190
	v_fmac_f32_e32 v37, 0xbf7ee86f, v156
	v_mov_b32_e32 v65, v96
	v_mov_b32_e32 v96, v135
	;; [unrolled: 1-line block ×3, first 2 shown]
	v_mul_f32_e32 v194, 0x3f3d2fb0, v125
	v_add_f32_e32 v36, v37, v36
	v_mov_b32_e32 v37, v194
	v_fmac_f32_e32 v37, 0x3f2c7751, v163
	v_mov_b32_e32 v67, v136
	v_mov_b32_e32 v136, v195
	v_mul_f32_e32 v195, 0xbf7ba420, v139
	v_add_f32_e32 v36, v37, v36
	v_mov_b32_e32 v37, v195
	v_fmac_f32_e32 v37, 0x3e3c28d5, v174
	v_mov_b32_e32 v64, v198
	v_mul_f32_e32 v198, 0x3ee437d1, v142
	v_add_f32_e32 v36, v37, v36
	v_mov_b32_e32 v37, v198
	v_fmac_f32_e32 v37, 0xbf65296c, v177
	v_mul_f32_e32 v199, 0xbf4c4adb, v117
	v_add_f32_e32 v37, v37, v36
	v_mov_b32_e32 v36, v199
	v_mul_f32_e32 v201, 0x3f763a35, v128
	v_fmac_f32_e32 v36, 0xbf1a4643, v40
	buffer_store_dword v38, off, s[28:31], 0 offset:12 ; 4-byte Folded Spill
	v_mov_b32_e32 v38, v201
	v_add_f32_e32 v36, v32, v36
	v_fmac_f32_e32 v38, 0xbe8c1d8e, v47
	v_mul_f32_e32 v203, 0xbeb8f4ab, v143
	v_add_f32_e32 v36, v38, v36
	v_mov_b32_e32 v38, v203
	v_fmac_f32_e32 v38, 0x3f6eb680, v61
	v_mul_f32_e32 v204, 0xbf06c442, v148
	v_add_f32_e32 v36, v38, v36
	v_mov_b32_e32 v38, v204
	;; [unrolled: 4-line block ×7, first 2 shown]
	v_mul_f32_e32 v238, 0x3ee437d1, v60
	v_fmac_f32_e32 v38, 0x3f06c442, v144
	buffer_store_dword v39, off, s[28:31], 0 offset:16 ; 4-byte Folded Spill
	v_mov_b32_e32 v39, v238
	v_add_f32_e32 v38, v33, v38
	v_fmac_f32_e32 v39, 0xbf65296c, v147
	v_mul_f32_e32 v211, 0x3dbcf732, v63
	v_add_f32_e32 v38, v39, v38
	v_mov_b32_e32 v39, v211
	v_fmac_f32_e32 v39, 0x3f7ee86f, v150
	v_mul_f32_e32 v213, 0xbf1a4643, v110
	v_add_f32_e32 v38, v39, v38
	v_mov_b32_e32 v39, v213
	v_fmac_f32_e32 v39, 0xbf4c4adb, v154
	v_mul_f32_e32 v214, 0x3f6eb680, v114
	v_add_f32_e32 v38, v39, v38
	v_mov_b32_e32 v39, v214
	v_fmac_f32_e32 v39, 0x3eb8f4ab, v156
	v_mul_f32_e32 v215, 0xbf7ba420, v125
	v_add_f32_e32 v38, v39, v38
	v_mov_b32_e32 v39, v215
	v_fmac_f32_e32 v39, 0x3e3c28d5, v163
	v_mul_f32_e32 v217, 0x3f3d2fb0, v139
	v_add_f32_e32 v38, v39, v38
	v_mov_b32_e32 v39, v217
	v_fmac_f32_e32 v39, 0xbf2c7751, v174
	v_mul_f32_e32 v218, 0xbe8c1d8e, v142
	v_add_f32_e32 v38, v39, v38
	v_mov_b32_e32 v39, v218
	v_fmac_f32_e32 v39, 0x3f763a35, v177
	v_mul_f32_e32 v219, 0xbf06c442, v117
	v_add_f32_e32 v39, v39, v38
	v_mov_b32_e32 v38, v219
	v_mul_f32_e32 v220, 0x3f65296c, v128
	v_fmac_f32_e32 v38, 0xbf59a7d5, v40
	v_mov_b32_e32 v233, v220
	v_add_f32_e32 v38, v32, v38
	v_fmac_f32_e32 v233, 0x3ee437d1, v47
	v_mul_f32_e32 v221, 0xbf7ee86f, v143
	v_add_f32_e32 v38, v233, v38
	v_mov_b32_e32 v233, v221
	v_fmac_f32_e32 v233, 0x3dbcf732, v61
	v_mul_f32_e32 v222, 0x3f4c4adb, v148
	v_add_f32_e32 v38, v233, v38
	v_mov_b32_e32 v233, v222
	;; [unrolled: 4-line block ×7, first 2 shown]
	v_mul_f32_e32 v236, 0x3f6eb680, v60
	v_fmac_f32_e32 v233, 0x3e3c28d5, v144
	v_mov_b32_e32 v234, v236
	v_add_f32_e32 v233, v33, v233
	v_fmac_f32_e32 v234, 0xbeb8f4ab, v147
	v_mul_f32_e32 v227, 0xbf59a7d5, v63
	v_add_f32_e32 v233, v234, v233
	v_mov_b32_e32 v234, v227
	v_fmac_f32_e32 v234, 0x3f06c442, v150
	v_mul_f32_e32 v228, 0x3f3d2fb0, v110
	v_add_f32_e32 v233, v234, v233
	v_mov_b32_e32 v234, v228
	;; [unrolled: 4-line block ×6, first 2 shown]
	v_fmac_f32_e32 v235, 0xbe3c28d5, v144
	v_fmac_f32_e32 v234, 0xbf7ee86f, v177
	v_mul_f32_e32 v243, 0xbe3c28d5, v117
	v_add_f32_e32 v235, v33, v235
	v_fmac_f32_e32 v236, 0x3eb8f4ab, v147
	v_add_f32_e32 v234, v234, v233
	v_mov_b32_e32 v233, v243
	v_mul_f32_e32 v244, 0x3eb8f4ab, v128
	v_add_f32_e32 v235, v236, v235
	v_fmac_f32_e32 v227, 0xbf06c442, v150
	v_fmac_f32_e32 v233, 0xbf7ba420, v40
	v_mov_b32_e32 v248, v244
	v_add_f32_e32 v227, v227, v235
	v_fmac_f32_e32 v228, 0x3f2c7751, v154
	v_add_f32_e32 v233, v32, v233
	v_fmac_f32_e32 v248, 0x3f6eb680, v47
	v_mul_f32_e32 v250, 0xbf06c442, v143
	v_add_f32_e32 v227, v228, v227
	v_fmac_f32_e32 v229, 0xbf4c4adb, v156
	v_add_f32_e32 v233, v248, v233
	v_mov_b32_e32 v248, v250
	v_add_f32_e32 v227, v229, v227
	v_fmac_f32_e32 v230, 0x3f65296c, v163
	v_fmac_f32_e32 v248, 0xbf59a7d5, v61
	v_mul_f32_e32 v245, 0x3f2c7751, v148
	v_add_f32_e32 v227, v230, v227
	v_fmac_f32_e32 v231, 0xbf763a35, v174
	v_add_f32_e32 v233, v248, v233
	v_mov_b32_e32 v248, v245
	v_add_f32_e32 v227, v231, v227
	v_fmac_f32_e32 v232, 0x3f7ee86f, v177
	v_fmac_f32_e32 v248, 0x3f3d2fb0, v62
	v_mul_f32_e32 v246, 0xbf4c4adb, v152
	v_add_f32_e32 v236, v232, v227
	v_fma_f32 v227, v40, s24, -v243
	v_add_f32_e32 v233, v248, v233
	v_mov_b32_e32 v248, v246
	v_add_f32_e32 v227, v32, v227
	v_fma_f32 v228, v47, s16, -v244
	v_fmac_f32_e32 v248, 0xbf1a4643, v66
	v_mul_f32_e32 v247, 0x3f65296c, v155
	v_add_f32_e32 v227, v228, v227
	v_fma_f32 v228, v61, s23, -v250
	v_add_f32_e32 v233, v248, v233
	v_mov_b32_e32 v248, v247
	v_add_f32_e32 v227, v228, v227
	v_fma_f32 v228, v62, s18, -v245
	;; [unrolled: 8-line block ×4, first 2 shown]
	v_fmac_f32_e32 v237, 0xbf06c442, v144
	v_add_f32_e32 v235, v134, v227
	v_add_f32_e32 v134, v33, v237
	v_fmac_f32_e32 v238, 0x3f65296c, v147
	v_add_f32_e32 v134, v238, v134
	v_fmac_f32_e32 v211, 0xbf7ee86f, v150
	;; [unrolled: 2-line block ×7, first 2 shown]
	v_add_f32_e32 v238, v218, v134
	v_fma_f32 v134, v40, s23, -v219
	v_add_f32_e32 v134, v32, v134
	v_fma_f32 v211, v47, s19, -v220
	;; [unrolled: 2-line block ×8, first 2 shown]
	v_fmac_f32_e32 v239, 0xbf4c4adb, v144
	v_add_f32_e32 v237, v211, v134
	v_add_f32_e32 v134, v33, v239
	v_fmac_f32_e32 v240, 0x3f763a35, v147
	v_add_f32_e32 v134, v240, v134
	v_fmac_f32_e32 v187, 0xbeb8f4ab, v150
	;; [unrolled: 2-line block ×5, first 2 shown]
	v_add_f32_e32 v134, v194, v134
	v_mov_b32_e32 v194, v135
	v_mov_b32_e32 v135, v96
	;; [unrolled: 1-line block ×3, first 2 shown]
	buffer_load_dword v65, off, s[28:31], 0 offset:16 ; 4-byte Folded Reload
	v_fmac_f32_e32 v195, 0xbe3c28d5, v174
	v_add_f32_e32 v134, v195, v134
	v_fmac_f32_e32 v198, 0x3f65296c, v177
	v_add_f32_e32 v240, v198, v134
	v_fma_f32 v134, v40, s22, -v199
	v_add_f32_e32 v134, v32, v134
	v_fma_f32 v187, v47, s21, -v201
	;; [unrolled: 2-line block ×6, first 2 shown]
	v_fma_f32 v131, v40, s21, -v131
	v_add_f32_e32 v134, v187, v134
	v_fma_f32 v187, v118, s24, -v208
	v_add_f32_e32 v131, v32, v131
	v_fma_f32 v132, v47, s23, -v132
	v_add_f32_e32 v134, v187, v134
	v_fma_f32 v187, v138, s19, -v210
	v_fmac_f32_e32 v241, 0xbf763a35, v144
	v_add_f32_e32 v131, v132, v131
	v_fma_f32 v132, v61, s18, -v133
	v_add_f32_e32 v239, v187, v134
	v_add_f32_e32 v134, v33, v241
	v_fmac_f32_e32 v242, 0x3f06c442, v147
	v_add_f32_e32 v131, v132, v131
	v_fma_f32 v132, v62, s19, -v179
	v_add_f32_e32 v134, v242, v134
	v_fmac_f32_e32 v251, 0x3f2c7751, v150
	v_add_f32_e32 v131, v132, v131
	v_fma_f32 v132, v66, s24, -v181
	;; [unrolled: 4-line block ×5, first 2 shown]
	v_add_f32_e32 v134, v254, v134
	v_fmac_f32_e32 v255, 0xbeb8f4ab, v174
	v_add_f32_e32 v241, v132, v131
	v_mul_f32_e32 v131, 0xbf7ee86f, v144
	v_add_f32_e32 v134, v255, v134
	v_fmac_f32_e32 v137, 0xbf4c4adb, v177
	v_mov_b32_e32 v132, v131
	v_mul_f32_e32 v133, 0xbe3c28d5, v147
	v_add_f32_e32 v242, v137, v134
	v_fmac_f32_e32 v132, 0x3dbcf732, v46
	v_mov_b32_e32 v134, v133
	v_add_f32_e32 v132, v33, v132
	v_fmac_f32_e32 v134, 0xbf7ba420, v60
	v_add_f32_e32 v132, v134, v132
	v_mul_f32_e32 v134, 0x3f763a35, v150
	v_mov_b32_e32 v137, v134
	v_fmac_f32_e32 v137, 0xbe8c1d8e, v63
	v_add_f32_e32 v132, v137, v132
	v_mul_f32_e32 v137, 0x3eb8f4ab, v154
	v_mov_b32_e32 v144, v137
	v_fmac_f32_e32 v144, 0x3f6eb680, v110
	v_mul_f32_e32 v150, 0xbf65296c, v156
	v_add_f32_e32 v132, v144, v132
	v_mov_b32_e32 v144, v150
	v_fmac_f32_e32 v144, 0x3ee437d1, v114
	v_mul_f32_e32 v156, 0xbf06c442, v163
	v_add_f32_e32 v132, v144, v132
	v_mov_b32_e32 v144, v156
	v_fmac_f32_e32 v144, 0xbf59a7d5, v125
	v_mul_f32_e32 v163, 0x3f4c4adb, v174
	v_add_f32_e32 v132, v144, v132
	v_mov_b32_e32 v144, v163
	v_fmac_f32_e32 v144, 0xbf1a4643, v139
	v_mul_f32_e32 v174, 0x3f2c7751, v177
	v_add_f32_e32 v132, v144, v132
	v_mov_b32_e32 v144, v174
	v_fmac_f32_e32 v144, 0x3f3d2fb0, v142
	v_add_f32_e32 v144, v144, v132
	v_mul_f32_e32 v132, 0xbf7ee86f, v117
	v_fma_f32 v117, v40, s20, -v132
	v_mul_f32_e32 v128, 0xbe3c28d5, v128
	v_add_f32_e32 v117, v32, v117
	v_fma_f32 v147, v47, s24, -v128
	v_mul_f32_e32 v177, 0x3f763a35, v143
	v_add_f32_e32 v117, v147, v117
	;; [unrolled: 3-line block ×6, first 2 shown]
	v_fma_f32 v143, v118, s22, -v160
	v_mul_f32_e32 v172, 0x3f2c7751, v172
	v_mov_b32_e32 v198, v64
	v_add_f32_e32 v117, v143, v117
	v_fma_f32 v143, v138, s18, -v172
	v_mul_f32_e32 v64, 0x3ee437d1, v46
	v_add_f32_e32 v143, v143, v117
	v_add_f32_e32 v117, v191, v64
	v_mul_f32_e32 v64, 0xbf1a4643, v60
	v_add_f32_e32 v117, v33, v117
	v_add_f32_e32 v147, v192, v64
	v_mul_f32_e32 v64, 0xbf7ba420, v63
	v_add_f32_e32 v117, v147, v117
	v_add_f32_e32 v147, v196, v64
	v_mul_f32_e32 v64, 0xbe8c1d8e, v110
	v_add_f32_e32 v117, v147, v117
	v_add_f32_e32 v147, v200, v64
	v_mul_f32_e32 v64, 0x3f3d2fb0, v114
	v_add_f32_e32 v117, v147, v117
	v_add_f32_e32 v147, v206, v64
	v_mul_f32_e32 v64, 0x3f6eb680, v125
	v_fmac_f32_e32 v248, 0x3dbcf732, v138
	v_add_f32_e32 v117, v147, v117
	v_add_f32_e32 v147, v209, v64
	v_mul_f32_e32 v64, 0x3dbcf732, v139
	v_add_f32_e32 v233, v248, v233
	v_mul_f32_e32 v248, 0xbf59a7d5, v142
	v_add_f32_e32 v117, v147, v117
	v_add_f32_e32 v147, v212, v64
	;; [unrolled: 1-line block ×4, first 2 shown]
	v_mul_f32_e32 v64, 0x3ee437d1, v40
	v_add_f32_e32 v148, v147, v117
	v_sub_f32_e32 v117, v64, v178
	v_mul_f32_e32 v64, 0xbf1a4643, v47
	v_add_f32_e32 v117, v32, v117
	v_sub_f32_e32 v147, v64, v180
	;; [unrolled: 3-line block ×8, first 2 shown]
	v_mul_f32_e32 v64, 0x3f3d2fb0, v46
	v_add_f32_e32 v147, v147, v117
	v_add_f32_e32 v117, v164, v64
	v_mul_f32_e32 v64, 0x3dbcf732, v60
	v_add_f32_e32 v117, v33, v117
	v_add_f32_e32 v154, v165, v64
	;; [unrolled: 3-line block ×8, first 2 shown]
	v_mul_f32_e32 v64, 0x3f3d2fb0, v40
	v_add_f32_e32 v155, v154, v117
	v_sub_f32_e32 v117, v64, v157
	v_mul_f32_e32 v64, 0x3dbcf732, v47
	v_add_f32_e32 v117, v32, v117
	v_sub_f32_e32 v154, v64, v158
	v_mul_f32_e32 v64, 0xbf1a4643, v61
	v_add_f32_e32 v117, v154, v117
	v_sub_f32_e32 v154, v64, v159
	v_mul_f32_e32 v64, 0xbf7ba420, v62
	v_add_f32_e32 v117, v154, v117
	v_sub_f32_e32 v154, v64, v161
	v_mul_f32_e32 v64, 0xbf59a7d5, v66
	v_add_f32_e32 v117, v154, v117
	v_sub_f32_e32 v154, v64, v162
	v_mul_f32_e32 v64, 0xbe8c1d8e, v113
	v_add_f32_e32 v117, v154, v117
	v_sub_f32_e32 v154, v64, v166
	v_mul_f32_e32 v64, 0x3ee437d1, v118
	v_add_f32_e32 v117, v154, v117
	v_sub_f32_e32 v154, v64, v168
	v_mul_f32_e32 v64, 0x3f6eb680, v138
	v_add_f32_e32 v117, v154, v117
	v_sub_f32_e32 v154, v64, v170
	v_mul_f32_e32 v64, 0x3f6eb680, v46
	v_mov_b32_e32 v195, v136
	v_mov_b32_e32 v136, v67
	s_waitcnt vmcnt(0)
	v_add_f32_e32 v67, v65, v64
	v_mul_f32_e32 v64, 0x3f3d2fb0, v60
	v_add_f32_e32 v67, v33, v67
	v_add_f32_e32 v111, v111, v64
	v_mul_f32_e32 v64, 0x3ee437d1, v63
	v_add_f32_e32 v67, v111, v67
	;; [unrolled: 3-line block ×7, first 2 shown]
	v_add_f32_e32 v111, v153, v64
	buffer_load_dword v65, off, s[28:31], 0 offset:12 ; 4-byte Folded Reload
	v_add_f32_e32 v154, v154, v117
	v_add_f32_e32 v117, v111, v67
	buffer_load_dword v67, off, s[28:31], 0 offset:8 ; 4-byte Folded Reload
	v_mul_f32_e32 v64, 0x3f6eb680, v40
	v_fmac_f32_e32 v132, 0x3dbcf732, v40
	v_fmac_f32_e32 v128, 0xbf7ba420, v47
	;; [unrolled: 1-line block ×7, first 2 shown]
	v_mul_u32_u24_e32 v40, 51, v194
	v_fmac_f32_e32 v172, 0x3f3d2fb0, v138
	v_add_lshl_u32 v40, v40, v195, 3
	s_waitcnt vmcnt(1)
	v_sub_f32_e32 v65, v64, v65
	v_mul_f32_e32 v64, 0x3f3d2fb0, v47
	v_add_f32_e32 v65, v32, v65
	s_waitcnt vmcnt(0)
	v_sub_f32_e32 v64, v64, v67
	v_add_f32_e32 v64, v64, v65
	v_mul_f32_e32 v65, 0x3ee437d1, v61
	v_sub_f32_e32 v65, v65, v112
	v_add_f32_e32 v64, v65, v64
	v_mul_f32_e32 v65, 0x3dbcf732, v62
	v_sub_f32_e32 v65, v65, v116
	v_add_f32_e32 v64, v65, v64
	v_mul_f32_e32 v65, 0xbe8c1d8e, v66
	v_sub_f32_e32 v65, v65, v127
	v_add_f32_e32 v64, v65, v64
	v_mul_f32_e32 v65, 0xbf1a4643, v113
	v_sub_f32_e32 v65, v65, v141
	v_add_f32_e32 v64, v65, v64
	v_mul_f32_e32 v65, 0xbf59a7d5, v118
	v_sub_f32_e32 v65, v65, v146
	v_add_f32_e32 v64, v65, v64
	v_mul_f32_e32 v65, 0xbf7ba420, v138
	v_sub_f32_e32 v65, v65, v151
	v_add_f32_e32 v116, v65, v64
	v_add_f32_e32 v64, v33, v68
	;; [unrolled: 1-line block ×12, first 2 shown]
	buffer_load_dword v179, off, s[28:31], 0 ; 4-byte Folded Reload
	v_add_f32_e32 v32, v181, v32
	buffer_load_dword v181, off, s[28:31], 0 offset:4 ; 4-byte Folded Reload
	v_add_f32_e32 v51, v51, v108
	v_add_f32_e32 v51, v51, v56
	;; [unrolled: 1-line block ×19, first 2 shown]
	v_fma_f32 v41, v46, s20, -v131
	v_add_f32_e32 v50, v50, v105
	v_add_f32_e32 v33, v33, v41
	v_fma_f32 v41, v60, s24, -v133
	v_add_f32_e32 v50, v50, v73
	v_add_f32_e32 v33, v41, v33
	;; [unrolled: 3-line block ×8, first 2 shown]
	v_add_f32_e32 v32, v172, v32
	ds_write2_b64 v40, v[49:50], v[116:117] offset1:3
	ds_write2_b64 v40, v[154:155], v[147:148] offset0:6 offset1:9
	ds_write2_b64 v40, v[143:144], v[241:242] offset0:12 offset1:15
	ds_write2_b64 v40, v[239:240], v[237:238] offset0:18 offset1:21
	ds_write2_b64 v40, v[235:236], v[233:234] offset0:24 offset1:27
	ds_write2_b64 v40, v[38:39], v[36:37] offset0:30 offset1:33
	ds_write2_b64 v40, v[34:35], v[32:33] offset0:36 offset1:39
	ds_write2_b64 v40, v[123:124], v[121:122] offset0:42 offset1:45
	ds_write_b64 v40, v[119:120] offset:384
.LBB0_11:
	s_or_b64 exec, exec, s[14:15]
	v_mad_u64_u32 v[44:45], s[4:5], v130, 48, s[4:5]
	s_waitcnt lgkmcnt(0)
	; wave barrier
	s_waitcnt lgkmcnt(0)
	global_load_dwordx4 v[40:43], v[44:45], off offset:384
	global_load_dwordx4 v[36:39], v[44:45], off offset:400
	;; [unrolled: 1-line block ×3, first 2 shown]
	v_add_u32_e32 v47, 0x800, v129
	ds_read2_b64 v[48:51], v129 offset1:51
	ds_read2_b64 v[52:55], v129 offset0:102 offset1:153
	ds_read2_b64 v[57:60], v129 offset0:204 offset1:255
	v_add_u32_e32 v56, 0xc00, v129
	v_add_u32_e32 v46, 0x1000, v129
	ds_read2_b64 v[61:64], v47 offset0:50 offset1:101
	ds_read2_b64 v[65:68], v47 offset0:152 offset1:203
	;; [unrolled: 1-line block ×4, first 2 shown]
	s_mov_b32 s4, 0x3f5ff5aa
	s_mov_b32 s5, 0x3f3bfb3b
	;; [unrolled: 1-line block ×4, first 2 shown]
	s_waitcnt lgkmcnt(0)
	; wave barrier
	s_waitcnt vmcnt(2) lgkmcnt(0)
	v_mul_f32_e32 v77, v53, v41
	v_mul_f32_e32 v105, v52, v41
	;; [unrolled: 1-line block ×3, first 2 shown]
	s_waitcnt vmcnt(1)
	v_mul_f32_e32 v108, v62, v37
	v_mul_f32_e32 v109, v61, v37
	s_waitcnt vmcnt(0)
	v_mul_f32_e32 v112, v70, v33
	v_mul_f32_e32 v114, v74, v35
	;; [unrolled: 1-line block ×8, first 2 shown]
	v_fma_f32 v52, v52, v40, -v77
	v_fmac_f32_e32 v105, v53, v40
	v_fma_f32 v53, v57, v42, -v106
	v_fma_f32 v57, v61, v36, -v108
	v_fmac_f32_e32 v109, v62, v36
	v_fma_f32 v61, v69, v32, -v112
	v_fma_f32 v62, v73, v34, -v114
	v_mul_f32_e32 v111, v65, v39
	v_mul_f32_e32 v117, v54, v41
	;; [unrolled: 1-line block ×6, first 2 shown]
	v_fmac_f32_e32 v107, v58, v42
	v_fma_f32 v58, v65, v38, -v110
	v_fmac_f32_e32 v113, v70, v32
	v_fmac_f32_e32 v115, v74, v34
	v_fma_f32 v65, v54, v40, -v116
	v_fmac_f32_e32 v125, v60, v42
	v_add_f32_e32 v54, v52, v62
	v_add_f32_e32 v60, v53, v61
	v_mul_f32_e32 v127, v63, v37
	v_mul_f32_e32 v128, v68, v39
	;; [unrolled: 1-line block ×3, first 2 shown]
	v_fmac_f32_e32 v111, v66, v38
	v_fmac_f32_e32 v117, v55, v40
	v_fma_f32 v69, v63, v36, -v126
	v_fmac_f32_e32 v131, v68, v38
	v_fma_f32 v68, v71, v32, -v132
	v_add_f32_e32 v55, v105, v115
	v_sub_f32_e32 v52, v52, v62
	v_add_f32_e32 v62, v107, v113
	v_add_f32_e32 v63, v57, v58
	;; [unrolled: 1-line block ×3, first 2 shown]
	v_fmac_f32_e32 v127, v64, v36
	v_fmac_f32_e32 v133, v72, v32
	v_add_f32_e32 v64, v109, v111
	v_add_f32_e32 v72, v62, v55
	v_sub_f32_e32 v73, v60, v54
	v_sub_f32_e32 v54, v54, v63
	;; [unrolled: 1-line block ×3, first 2 shown]
	v_add_f32_e32 v63, v63, v71
	v_mul_f32_e32 v134, v76, v35
	v_sub_f32_e32 v53, v53, v61
	v_sub_f32_e32 v57, v58, v57
	;; [unrolled: 1-line block ×5, first 2 shown]
	v_add_f32_e32 v64, v64, v72
	v_add_f32_e32 v48, v48, v63
	v_mul_f32_e32 v137, v75, v35
	v_fma_f32 v66, v59, v42, -v118
	v_fma_f32 v70, v75, v34, -v134
	v_sub_f32_e32 v59, v105, v115
	v_sub_f32_e32 v61, v107, v113
	;; [unrolled: 1-line block ×3, first 2 shown]
	v_add_f32_e32 v75, v57, v53
	v_sub_f32_e32 v77, v57, v53
	v_sub_f32_e32 v53, v53, v52
	v_add_f32_e32 v49, v49, v64
	v_mov_b32_e32 v106, v48
	v_fmac_f32_e32 v137, v76, v34
	v_add_f32_e32 v76, v58, v61
	v_sub_f32_e32 v105, v58, v61
	v_sub_f32_e32 v57, v52, v57
	;; [unrolled: 1-line block ×3, first 2 shown]
	v_add_f32_e32 v52, v75, v52
	v_mul_f32_e32 v54, 0x3f4a47b2, v54
	v_mul_f32_e32 v55, 0x3f4a47b2, v55
	;; [unrolled: 1-line block ×6, first 2 shown]
	v_fmac_f32_e32 v106, 0xbf955555, v63
	v_mov_b32_e32 v63, v49
	v_sub_f32_e32 v58, v59, v58
	v_add_f32_e32 v59, v76, v59
	v_mul_f32_e32 v76, 0xbf08b237, v105
	v_mul_f32_e32 v105, 0x3f5ff5aa, v61
	v_fmac_f32_e32 v63, 0xbf955555, v64
	v_fma_f32 v64, v73, s5, -v71
	v_fma_f32 v71, v74, s5, -v72
	;; [unrolled: 1-line block ×3, first 2 shown]
	v_fmac_f32_e32 v54, 0x3d64c772, v60
	v_fma_f32 v60, v74, s14, -v55
	v_fmac_f32_e32 v55, 0x3d64c772, v62
	v_fma_f32 v62, v53, s4, -v75
	v_fma_f32 v73, v57, s15, -v77
	v_fmac_f32_e32 v75, 0x3eae86e6, v57
	v_fma_f32 v61, v61, s4, -v76
	v_fmac_f32_e32 v76, 0x3eae86e6, v58
	v_fma_f32 v74, v58, s15, -v105
	v_add_f32_e32 v105, v55, v63
	v_add_f32_e32 v71, v71, v63
	;; [unrolled: 1-line block ×3, first 2 shown]
	v_fmac_f32_e32 v62, 0x3ee1c552, v52
	v_fmac_f32_e32 v73, 0x3ee1c552, v52
	v_fma_f32 v67, v67, v38, -v128
	v_add_f32_e32 v77, v54, v106
	v_add_f32_e32 v64, v64, v106
	;; [unrolled: 1-line block ×3, first 2 shown]
	v_fmac_f32_e32 v75, 0x3ee1c552, v52
	v_fmac_f32_e32 v76, 0x3ee1c552, v59
	;; [unrolled: 1-line block ×4, first 2 shown]
	v_sub_f32_e32 v55, v63, v73
	v_add_f32_e32 v58, v62, v71
	v_sub_f32_e32 v60, v71, v62
	v_add_f32_e32 v62, v73, v63
	v_add_f32_e32 v71, v65, v70
	;; [unrolled: 1-line block ×4, first 2 shown]
	v_sub_f32_e32 v53, v105, v75
	v_add_f32_e32 v54, v74, v72
	v_sub_f32_e32 v57, v64, v61
	v_add_f32_e32 v59, v61, v64
	v_sub_f32_e32 v61, v72, v74
	v_sub_f32_e32 v63, v77, v76
	v_add_f32_e32 v64, v75, v105
	v_add_f32_e32 v72, v117, v137
	;; [unrolled: 1-line block ×7, first 2 shown]
	v_sub_f32_e32 v106, v73, v71
	v_sub_f32_e32 v71, v71, v75
	;; [unrolled: 1-line block ×3, first 2 shown]
	v_add_f32_e32 v75, v75, v77
	v_sub_f32_e32 v65, v65, v70
	v_sub_f32_e32 v70, v117, v137
	;; [unrolled: 1-line block ×9, first 2 shown]
	v_add_f32_e32 v76, v76, v105
	v_add_f32_e32 v50, v50, v75
	;; [unrolled: 1-line block ×4, first 2 shown]
	v_sub_f32_e32 v110, v67, v66
	v_sub_f32_e32 v111, v69, v68
	;; [unrolled: 1-line block ×4, first 2 shown]
	v_add_f32_e32 v51, v51, v76
	v_mov_b32_e32 v112, v50
	v_sub_f32_e32 v67, v65, v67
	v_sub_f32_e32 v69, v70, v69
	v_add_f32_e32 v65, v108, v65
	v_add_f32_e32 v70, v109, v70
	v_mul_f32_e32 v71, 0x3f4a47b2, v71
	v_mul_f32_e32 v72, 0x3f4a47b2, v72
	;; [unrolled: 1-line block ×8, first 2 shown]
	v_fmac_f32_e32 v112, 0xbf955555, v75
	v_mov_b32_e32 v75, v51
	v_fmac_f32_e32 v75, 0xbf955555, v76
	v_fma_f32 v76, v106, s5, -v77
	v_fma_f32 v77, v107, s5, -v105
	;; [unrolled: 1-line block ×3, first 2 shown]
	v_fmac_f32_e32 v71, 0x3d64c772, v73
	v_fma_f32 v73, v107, s14, -v72
	v_fmac_f32_e32 v72, 0x3d64c772, v74
	v_fma_f32 v74, v66, s4, -v108
	;; [unrolled: 2-line block ×4, first 2 shown]
	v_fma_f32 v110, v69, s15, -v111
	v_add_f32_e32 v111, v71, v112
	v_add_f32_e32 v113, v72, v75
	;; [unrolled: 1-line block ×6, first 2 shown]
	v_fmac_f32_e32 v108, 0x3ee1c552, v65
	v_fmac_f32_e32 v109, 0x3ee1c552, v70
	;; [unrolled: 1-line block ×6, first 2 shown]
	v_add_f32_e32 v65, v109, v111
	v_sub_f32_e32 v66, v113, v108
	v_add_f32_e32 v67, v110, v76
	v_sub_f32_e32 v68, v75, v107
	v_sub_f32_e32 v69, v71, v106
	v_add_f32_e32 v70, v74, v72
	v_add_f32_e32 v71, v106, v71
	v_sub_f32_e32 v72, v72, v74
	v_sub_f32_e32 v73, v76, v110
	v_add_f32_e32 v74, v107, v75
	v_sub_f32_e32 v75, v111, v109
	v_add_f32_e32 v76, v108, v113
	ds_write2_b64 v129, v[48:49], v[52:53] offset1:51
	ds_write2_b64 v129, v[54:55], v[57:58] offset0:102 offset1:153
	ds_write2_b64 v129, v[59:60], v[61:62] offset0:204 offset1:255
	;; [unrolled: 1-line block ×6, first 2 shown]
	v_mul_i32_i24_e32 v49, 0xffffffd8, v130
	v_mul_hi_i32_i24_e32 v48, 0xffffffd8, v130
	v_add_co_u32_e32 v44, vcc, v44, v49
	v_addc_co_u32_e32 v45, vcc, v45, v48, vcc
	s_waitcnt lgkmcnt(0)
	; wave barrier
	s_waitcnt lgkmcnt(0)
	global_load_dwordx2 v[105:106], v[44:45], off offset:2832
	global_load_dwordx2 v[107:108], v[44:45], off offset:3240
	;; [unrolled: 1-line block ×3, first 2 shown]
	s_movk_i32 s4, 0x1000
	global_load_dwordx2 v[111:112], v[44:45], off offset:4056
	v_add_co_u32_e32 v44, vcc, s4, v44
	v_addc_co_u32_e32 v45, vcc, 0, v45, vcc
	global_load_dwordx2 v[113:114], v[44:45], off offset:368
	global_load_dwordx2 v[115:116], v[44:45], off offset:776
	;; [unrolled: 1-line block ×3, first 2 shown]
	v_mov_b32_e32 v44, s17
	v_addc_co_u32_e64 v77, vcc, 0, v44, s[6:7]
	ds_read2_b64 v[48:51], v129 offset1:51
	ds_read2_b64 v[52:55], v47 offset0:50 offset1:101
	ds_read2_b64 v[57:60], v47 offset0:152 offset1:203
	;; [unrolled: 1-line block ×6, first 2 shown]
	s_waitcnt vmcnt(6) lgkmcnt(5)
	v_mul_f32_e32 v44, v55, v106
	v_fma_f32 v44, v54, v105, -v44
	v_mul_f32_e32 v45, v54, v106
	s_waitcnt vmcnt(5) lgkmcnt(4)
	v_mul_f32_e32 v54, v58, v108
	v_fma_f32 v125, v57, v107, -v54
	s_waitcnt vmcnt(4)
	v_mul_f32_e32 v54, v60, v110
	v_fma_f32 v127, v59, v109, -v54
	s_waitcnt vmcnt(3) lgkmcnt(2)
	v_mul_f32_e32 v54, v66, v112
	v_fma_f32 v131, v65, v111, -v54
	s_waitcnt vmcnt(2)
	v_mul_f32_e32 v54, v68, v114
	v_mul_f32_e32 v126, v57, v108
	v_fma_f32 v133, v67, v113, -v54
	s_waitcnt vmcnt(1) lgkmcnt(0)
	v_mul_f32_e32 v54, v74, v116
	v_fmac_f32_e32 v126, v58, v107
	v_mul_f32_e32 v128, v59, v110
	v_mul_f32_e32 v132, v65, v112
	;; [unrolled: 1-line block ×3, first 2 shown]
	v_fma_f32 v137, v73, v115, -v54
	v_mul_f32_e32 v138, v73, v116
	s_waitcnt vmcnt(0)
	v_mul_f32_e32 v54, v76, v118
	v_mul_f32_e32 v140, v75, v118
	v_fmac_f32_e32 v45, v55, v105
	v_fmac_f32_e32 v128, v60, v109
	v_fmac_f32_e32 v132, v66, v111
	v_fmac_f32_e32 v134, v68, v113
	v_fmac_f32_e32 v138, v74, v115
	v_fma_f32 v139, v75, v117, -v54
	v_fmac_f32_e32 v140, v76, v117
	v_sub_f32_e32 v57, v50, v125
	v_sub_f32_e32 v58, v51, v126
	;; [unrolled: 1-line block ×4, first 2 shown]
	v_fma_f32 v59, v50, 2.0, -v57
	v_fma_f32 v60, v51, 2.0, -v58
	v_sub_f32_e32 v65, v61, v127
	v_sub_f32_e32 v66, v62, v128
	;; [unrolled: 1-line block ×10, first 2 shown]
	v_fma_f32 v54, v48, 2.0, -v44
	v_fma_f32 v55, v49, 2.0, -v45
	;; [unrolled: 1-line block ×12, first 2 shown]
	ds_write_b64 v129, v[44:45] offset:2856
	ds_write2_b64 v129, v[54:55], v[59:60] offset1:51
	ds_write2_b64 v47, v[57:58], v[65:66] offset0:152 offset1:203
	ds_write2_b64 v129, v[61:62], v[63:64] offset0:102 offset1:153
	;; [unrolled: 1-line block ×4, first 2 shown]
	ds_write_b64 v129, v[48:49] offset:2448
	ds_write2_b64 v46, v[75:76], v[50:51] offset0:100 offset1:151
	v_add_co_u32_e32 v44, vcc, s4, v78
	v_addc_co_u32_e32 v45, vcc, 0, v77, vcc
	s_waitcnt lgkmcnt(0)
	; wave barrier
	s_waitcnt lgkmcnt(0)
	global_load_dwordx2 v[57:58], v[44:45], off offset:1616
	s_movk_i32 s4, 0x1650
	v_add_co_u32_e32 v44, vcc, s4, v78
	v_addc_co_u32_e32 v45, vcc, 0, v77, vcc
	global_load_dwordx2 v[66:67], v[44:45], off offset:1904
	global_load_dwordx2 v[68:69], v[44:45], off offset:3808
	;; [unrolled: 1-line block ×4, first 2 shown]
	s_movk_i32 s4, 0x2000
	v_add_co_u32_e32 v52, vcc, s4, v78
	v_addc_co_u32_e32 v53, vcc, 0, v77, vcc
	global_load_dwordx2 v[74:75], v[52:53], off offset:1736
	global_load_dwordx2 v[76:77], v[44:45], off offset:816
	;; [unrolled: 1-line block ×7, first 2 shown]
	ds_read2_b64 v[52:55], v129 offset1:51
	s_waitcnt vmcnt(11) lgkmcnt(0)
	v_mul_f32_e32 v59, v53, v58
	v_mul_f32_e32 v60, v52, v58
	v_fma_f32 v59, v52, v57, -v59
	v_fmac_f32_e32 v60, v53, v57
	ds_write_b64 v129, v[59:60]
	v_add_u32_e32 v57, 0x400, v129
	ds_read2_b64 v[58:61], v57 offset0:110 offset1:161
	ds_read2_b64 v[62:65], v56 offset0:92 offset1:143
	s_waitcnt vmcnt(10) lgkmcnt(1)
	v_mul_f32_e32 v52, v59, v67
	v_fma_f32 v144, v58, v66, -v52
	v_mul_f32_e32 v145, v58, v67
	s_waitcnt vmcnt(9) lgkmcnt(0)
	v_mul_f32_e32 v52, v63, v69
	v_fmac_f32_e32 v145, v59, v66
	v_fma_f32 v66, v62, v68, -v52
	v_mul_f32_e32 v67, v62, v69
	s_waitcnt vmcnt(8)
	v_mul_f32_e32 v52, v55, v71
	v_fmac_f32_e32 v67, v63, v68
	v_fma_f32 v62, v54, v70, -v52
	v_mul_f32_e32 v63, v54, v71
	s_waitcnt vmcnt(7)
	v_mul_f32_e32 v52, v61, v73
	v_fmac_f32_e32 v63, v55, v70
	v_fma_f32 v68, v60, v72, -v52
	ds_read2_b64 v[52:55], v129 offset0:102 offset1:153
	v_mul_f32_e32 v69, v60, v73
	s_waitcnt vmcnt(6)
	v_mul_f32_e32 v58, v65, v75
	v_mul_f32_e32 v71, v64, v75
	v_fmac_f32_e32 v69, v61, v72
	v_fma_f32 v70, v64, v74, -v58
	v_fmac_f32_e32 v71, v65, v74
	s_waitcnt vmcnt(5) lgkmcnt(0)
	v_mul_f32_e32 v64, v53, v77
	ds_read2_b64 v[58:61], v47 offset0:84 offset1:135
	v_mul_f32_e32 v65, v52, v77
	v_fma_f32 v64, v52, v76, -v64
	v_fmac_f32_e32 v65, v53, v76
	ds_write2_b64 v129, v[62:63], v[64:65] offset0:51 offset1:102
	ds_read2_b64 v[62:65], v46 offset0:66 offset1:117
	s_waitcnt vmcnt(4) lgkmcnt(2)
	v_mul_f32_e32 v52, v59, v126
	v_mul_f32_e32 v53, v58, v126
	v_fma_f32 v52, v58, v125, -v52
	v_fmac_f32_e32 v53, v59, v125
	ds_write2_b64 v47, v[68:69], v[52:53] offset0:33 offset1:84
	s_waitcnt vmcnt(3) lgkmcnt(1)
	v_mul_f32_e32 v52, v63, v128
	v_mul_f32_e32 v53, v62, v128
	v_fma_f32 v52, v62, v127, -v52
	v_fmac_f32_e32 v53, v63, v127
	ds_write2_b64 v46, v[70:71], v[52:53] offset0:15 offset1:66
	s_waitcnt vmcnt(2)
	v_mul_f32_e32 v52, v55, v139
	v_mul_f32_e32 v53, v54, v139
	v_fma_f32 v52, v54, v138, -v52
	v_fmac_f32_e32 v53, v55, v138
	ds_write2_b64 v129, v[52:53], v[144:145] offset0:153 offset1:238
	s_waitcnt vmcnt(1)
	;; [unrolled: 6-line block ×3, first 2 shown]
	v_mul_f32_e32 v52, v65, v143
	v_mul_f32_e32 v53, v64, v143
	v_fma_f32 v52, v64, v142, -v52
	v_fmac_f32_e32 v53, v65, v142
	ds_write_b64 v129, v[52:53] offset:5032
	s_and_saveexec_b64 s[4:5], s[0:1]
	s_cbranch_execz .LBB0_13
; %bb.12:
	global_load_dwordx2 v[58:59], v[44:45], off offset:1632
	global_load_dwordx2 v[60:61], v[44:45], off offset:3536
	v_add_co_u32_e32 v44, vcc, 0x1000, v44
	v_addc_co_u32_e32 v45, vcc, 0, v45, vcc
	global_load_dwordx2 v[44:45], v[44:45], off offset:1344
	v_add_u32_e32 v66, 0x600, v129
	ds_read2_b64 v[52:55], v66 offset0:12 offset1:250
	ds_read_b64 v[62:63], v129 offset:5440
	s_waitcnt vmcnt(2) lgkmcnt(1)
	v_mul_f32_e32 v64, v53, v59
	v_mul_f32_e32 v65, v52, v59
	s_waitcnt vmcnt(1)
	v_mul_f32_e32 v67, v55, v61
	v_mul_f32_e32 v59, v54, v61
	v_fma_f32 v64, v52, v58, -v64
	v_fmac_f32_e32 v65, v53, v58
	s_waitcnt vmcnt(0) lgkmcnt(0)
	v_mul_f32_e32 v52, v63, v45
	v_mul_f32_e32 v53, v62, v45
	v_fma_f32 v58, v54, v60, -v67
	v_fmac_f32_e32 v59, v55, v60
	v_fma_f32 v52, v62, v44, -v52
	v_fmac_f32_e32 v53, v63, v44
	ds_write2_b64 v66, v[64:65], v[58:59] offset0:12 offset1:250
	ds_write_b64 v129, v[52:53] offset:5440
.LBB0_13:
	s_or_b64 exec, exec, s[4:5]
	s_waitcnt lgkmcnt(0)
	; wave barrier
	s_waitcnt lgkmcnt(0)
	ds_read2_b64 v[52:55], v129 offset1:51
	ds_read2_b64 v[60:63], v57 offset0:110 offset1:161
	ds_read2_b64 v[64:67], v56 offset0:92 offset1:143
	;; [unrolled: 1-line block ×5, first 2 shown]
	s_and_saveexec_b64 s[4:5], s[0:1]
	s_cbranch_execz .LBB0_15
; %bb.14:
	v_add_u32_e32 v44, 0x600, v129
	ds_read2_b64 v[48:51], v44 offset0:12 offset1:250
	ds_read_b64 v[123:124], v129 offset:5440
.LBB0_15:
	s_or_b64 exec, exec, s[4:5]
	s_waitcnt lgkmcnt(3)
	v_add_f32_e32 v47, v61, v65
	v_add_f32_e32 v45, v60, v64
	v_fma_f32 v69, -0.5, v47, v53
	v_add_f32_e32 v44, v52, v60
	v_fma_f32 v68, -0.5, v45, v52
	v_sub_f32_e32 v52, v60, v64
	v_mov_b32_e32 v47, v69
	v_fmac_f32_e32 v47, 0x3f5db3d7, v52
	v_fmac_f32_e32 v69, 0xbf5db3d7, v52
	v_add_f32_e32 v52, v54, v62
	v_add_f32_e32 v127, v52, v66
	;; [unrolled: 1-line block ×3, first 2 shown]
	v_sub_f32_e32 v45, v61, v65
	v_mov_b32_e32 v46, v68
	v_fma_f32 v54, -0.5, v52, v54
	v_fmac_f32_e32 v46, 0xbf5db3d7, v45
	v_fmac_f32_e32 v68, 0x3f5db3d7, v45
	v_add_f32_e32 v45, v53, v61
	v_sub_f32_e32 v53, v63, v67
	v_mov_b32_e32 v52, v54
	v_fmac_f32_e32 v52, 0xbf5db3d7, v53
	v_fmac_f32_e32 v54, 0x3f5db3d7, v53
	v_add_f32_e32 v53, v55, v63
	v_add_f32_e32 v128, v53, v67
	;; [unrolled: 1-line block ×3, first 2 shown]
	v_fmac_f32_e32 v55, -0.5, v53
	v_sub_f32_e32 v60, v62, v66
	v_mov_b32_e32 v53, v55
	v_fmac_f32_e32 v53, 0x3f5db3d7, v60
	v_fmac_f32_e32 v55, 0xbf5db3d7, v60
	s_waitcnt lgkmcnt(1)
	v_add_f32_e32 v60, v56, v70
	v_add_f32_e32 v44, v44, v64
	s_waitcnt lgkmcnt(0)
	v_add_f32_e32 v64, v60, v74
	v_add_f32_e32 v60, v70, v74
	v_fma_f32 v60, -0.5, v60, v56
	v_sub_f32_e32 v56, v71, v75
	v_mov_b32_e32 v66, v60
	v_fmac_f32_e32 v66, 0xbf5db3d7, v56
	v_fmac_f32_e32 v60, 0x3f5db3d7, v56
	v_add_f32_e32 v56, v57, v71
	v_add_f32_e32 v45, v45, v65
	;; [unrolled: 1-line block ×4, first 2 shown]
	v_fma_f32 v61, -0.5, v56, v57
	v_sub_f32_e32 v56, v70, v74
	v_mov_b32_e32 v67, v61
	v_add_f32_e32 v57, v72, v76
	v_fmac_f32_e32 v67, 0x3f5db3d7, v56
	v_fmac_f32_e32 v61, 0xbf5db3d7, v56
	v_add_f32_e32 v56, v58, v72
	v_fma_f32 v58, -0.5, v57, v58
	v_sub_f32_e32 v57, v73, v77
	v_mov_b32_e32 v125, v58
	v_add_f32_e32 v62, v73, v77
	v_fmac_f32_e32 v125, 0xbf5db3d7, v57
	v_fmac_f32_e32 v58, 0x3f5db3d7, v57
	v_add_f32_e32 v57, v59, v73
	v_fmac_f32_e32 v59, -0.5, v62
	v_sub_f32_e32 v62, v72, v76
	v_mov_b32_e32 v126, v59
	v_fmac_f32_e32 v126, 0x3f5db3d7, v62
	v_fmac_f32_e32 v59, 0xbf5db3d7, v62
	v_add_f32_e32 v62, v50, v48
	v_add_f32_e32 v72, v123, v62
	;; [unrolled: 1-line block ×3, first 2 shown]
	v_fmac_f32_e32 v48, -0.5, v62
	v_sub_f32_e32 v62, v51, v124
	v_mov_b32_e32 v74, v48
	v_fmac_f32_e32 v74, 0xbf5db3d7, v62
	v_fmac_f32_e32 v48, 0x3f5db3d7, v62
	v_add_f32_e32 v62, v51, v49
	v_add_f32_e32 v51, v51, v124
	v_fmac_f32_e32 v49, -0.5, v51
	v_sub_f32_e32 v50, v50, v123
	v_mov_b32_e32 v75, v49
	v_add_f32_e32 v56, v56, v76
	v_add_f32_e32 v57, v57, v77
	;; [unrolled: 1-line block ×3, first 2 shown]
	v_fmac_f32_e32 v75, 0x3f5db3d7, v50
	v_fmac_f32_e32 v49, 0xbf5db3d7, v50
	s_waitcnt lgkmcnt(0)
	; wave barrier
	ds_write2_b64 v135, v[44:45], v[46:47] offset1:1
	ds_write_b64 v135, v[68:69] offset:16
	ds_write2_b64 v96, v[127:128], v[52:53] offset1:1
	ds_write_b64 v96, v[54:55] offset:16
	;; [unrolled: 2-line block ×4, first 2 shown]
	s_and_saveexec_b64 s[4:5], s[0:1]
	s_cbranch_execz .LBB0_17
; %bb.16:
	v_lshlrev_b32_e32 v50, 3, v181
	ds_write2_b64 v50, v[72:73], v[74:75] offset1:1
	ds_write_b64 v50, v[48:49] offset:16
.LBB0_17:
	s_or_b64 exec, exec, s[4:5]
	s_waitcnt lgkmcnt(0)
	; wave barrier
	s_waitcnt lgkmcnt(0)
	s_and_saveexec_b64 s[4:5], s[2:3]
	s_cbranch_execz .LBB0_19
; %bb.18:
	v_add_u32_e32 v48, 0x400, v129
	ds_read2_b64 v[44:47], v129 offset1:42
	ds_read2_b64 v[68:71], v129 offset0:84 offset1:126
	ds_read2_b64 v[52:55], v129 offset0:168 offset1:210
	;; [unrolled: 1-line block ×3, first 2 shown]
	v_add_u32_e32 v56, 0x800, v129
	v_add_u32_e32 v48, 0x1000, v129
	ds_read2_b64 v[60:63], v56 offset0:80 offset1:122
	ds_read2_b64 v[48:51], v48 offset0:76 offset1:118
	;; [unrolled: 1-line block ×3, first 2 shown]
	v_add_u32_e32 v72, 0xc00, v129
	ds_read2_b64 v[72:75], v72 offset0:120 offset1:162
	ds_read_b64 v[119:120], v129 offset:5376
	s_waitcnt lgkmcnt(7)
	v_mov_b32_e32 v127, v70
	s_waitcnt lgkmcnt(3)
	v_mov_b32_e32 v121, v50
	v_mov_b32_e32 v122, v51
	s_waitcnt lgkmcnt(2)
	v_mov_b32_e32 v125, v56
	v_mov_b32_e32 v126, v57
	;; [unrolled: 1-line block ×5, first 2 shown]
.LBB0_19:
	s_or_b64 exec, exec, s[4:5]
	s_waitcnt lgkmcnt(0)
	; wave barrier
	s_waitcnt lgkmcnt(0)
	s_and_saveexec_b64 s[4:5], s[2:3]
	s_cbranch_execz .LBB0_21
; %bb.20:
	v_mul_f32_e32 v62, v21, v47
	v_mul_f32_e32 v51, v31, v120
	v_fmac_f32_e32 v62, v20, v46
	v_fmac_f32_e32 v51, v30, v119
	v_sub_f32_e32 v50, v62, v51
	v_mul_f32_e32 v31, v31, v119
	v_mul_f32_e32 v21, v21, v46
	;; [unrolled: 1-line block ×3, first 2 shown]
	v_fma_f32 v31, v30, v120, -v31
	v_fma_f32 v47, v20, v47, -v21
	v_add_f32_e32 v76, v31, v47
	v_mov_b32_e32 v20, v131
	v_mul_f32_e32 v46, v23, v69
	v_mul_f32_e32 v30, v29, v122
	v_fmac_f32_e32 v20, 0xbe8c1d8e, v76
	v_fmac_f32_e32 v46, v22, v68
	;; [unrolled: 1-line block ×3, first 2 shown]
	v_add_f32_e32 v21, v45, v20
	v_sub_f32_e32 v20, v46, v30
	v_mul_f32_e32 v29, v29, v121
	v_mul_f32_e32 v23, v23, v68
	;; [unrolled: 1-line block ×3, first 2 shown]
	v_fma_f32 v63, v28, v122, -v29
	v_fma_f32 v69, v22, v69, -v23
	v_add_f32_e32 v119, v63, v69
	v_mov_b32_e32 v22, v132
	v_mul_f32_e32 v68, v13, v128
	v_mul_f32_e32 v29, v27, v49
	v_fmac_f32_e32 v22, 0xbf59a7d5, v119
	v_fmac_f32_e32 v68, v12, v127
	;; [unrolled: 1-line block ×3, first 2 shown]
	v_add_f32_e32 v22, v22, v21
	v_sub_f32_e32 v21, v68, v29
	v_mul_f32_e32 v23, v27, v48
	v_mul_f32_e32 v13, v13, v127
	;; [unrolled: 1-line block ×3, first 2 shown]
	v_fma_f32 v49, v26, v49, -v23
	v_fma_f32 v71, v12, v128, -v13
	v_add_f32_e32 v120, v49, v71
	v_mov_b32_e32 v12, v137
	v_mul_f32_e32 v70, v15, v53
	v_mul_f32_e32 v48, v25, v75
	v_fmac_f32_e32 v12, 0x3f3d2fb0, v120
	v_fmac_f32_e32 v70, v14, v52
	;; [unrolled: 1-line block ×3, first 2 shown]
	v_mul_f32_e32 v13, v25, v74
	v_add_f32_e32 v12, v12, v22
	v_sub_f32_e32 v22, v70, v48
	v_fma_f32 v74, v24, v75, -v13
	v_mul_f32_e32 v13, v15, v52
	v_mul_f32_e32 v138, 0xbf65296c, v22
	v_fma_f32 v75, v14, v53, -v13
	v_add_f32_e32 v122, v74, v75
	v_mov_b32_e32 v13, v138
	v_fmac_f32_e32 v13, 0x3ee437d1, v122
	v_add_f32_e32 v12, v13, v12
	v_mul_f32_e32 v53, v5, v55
	v_mul_f32_e32 v52, v19, v73
	;; [unrolled: 1-line block ×4, first 2 shown]
	v_fmac_f32_e32 v53, v4, v54
	v_fmac_f32_e32 v52, v18, v72
	v_fma_f32 v72, v18, v73, -v13
	v_fma_f32 v73, v4, v55, -v5
	v_mul_f32_e32 v55, v7, v65
	v_mul_f32_e32 v54, v17, v59
	v_sub_f32_e32 v14, v53, v52
	v_fmac_f32_e32 v55, v6, v64
	v_fmac_f32_e32 v54, v16, v58
	v_mul_f32_e32 v5, v17, v58
	v_mul_f32_e32 v139, 0xbe3c28d5, v14
	v_sub_f32_e32 v15, v55, v54
	v_fma_f32 v77, v16, v59, -v5
	v_mul_f32_e32 v5, v7, v64
	s_mov_b32 s2, 0xbe8c1d8e
	v_add_f32_e32 v123, v72, v73
	v_mov_b32_e32 v4, v139
	v_mul_f32_e32 v140, 0x3f7ee86f, v15
	v_fma_f32 v64, v6, v65, -v5
	s_mov_b32 s3, 0xbf59a7d5
	v_fmac_f32_e32 v4, 0xbf7ba420, v123
	v_add_f32_e32 v124, v77, v64
	v_mov_b32_e32 v5, v140
	v_mul_f32_e32 v58, v1, v67
	v_mul_f32_e32 v59, v11, v126
	v_fma_f32 v131, v76, s2, -v131
	s_mov_b32 s6, 0x3f3d2fb0
	v_add_f32_e32 v4, v4, v12
	v_fmac_f32_e32 v5, 0x3dbcf732, v124
	v_fmac_f32_e32 v58, v0, v66
	;; [unrolled: 1-line block ×3, first 2 shown]
	v_mul_f32_e32 v1, v1, v66
	v_mul_f32_e32 v65, v3, v61
	;; [unrolled: 1-line block ×3, first 2 shown]
	v_add_f32_e32 v131, v45, v131
	v_fma_f32 v132, v119, s3, -v132
	s_mov_b32 s7, 0x3ee437d1
	v_add_f32_e32 v4, v5, v4
	v_sub_f32_e32 v16, v58, v59
	v_mul_f32_e32 v5, v11, v125
	v_fma_f32 v67, v0, v67, -v1
	v_fmac_f32_e32 v65, v2, v60
	v_fmac_f32_e32 v66, v8, v56
	v_mul_f32_e32 v1, v9, v56
	v_add_f32_e32 v131, v132, v131
	v_fma_f32 v132, v120, s6, -v137
	s_mov_b32 s14, 0xbf7ba420
	v_mul_f32_e32 v141, 0xbeb8f4ab, v16
	v_fma_f32 v121, v10, v126, -v5
	v_sub_f32_e32 v17, v65, v66
	v_fma_f32 v56, v8, v57, -v1
	v_mul_f32_e32 v1, v3, v60
	v_add_f32_e32 v131, v132, v131
	v_fma_f32 v132, v122, s7, -v138
	s_mov_b32 s15, 0x3dbcf732
	v_add_f32_e32 v125, v121, v67
	v_mov_b32_e32 v0, v141
	v_mul_f32_e32 v142, 0xbf4c4adb, v17
	v_fma_f32 v57, v2, v61, -v1
	v_add_f32_e32 v131, v132, v131
	v_fma_f32 v132, v123, s14, -v139
	v_fmac_f32_e32 v0, 0x3f6eb680, v125
	v_add_f32_e32 v60, v56, v57
	v_mov_b32_e32 v1, v142
	v_sub_f32_e32 v61, v47, v31
	v_add_f32_e32 v131, v132, v131
	v_fma_f32 v132, v124, s15, -v140
	v_add_f32_e32 v0, v0, v4
	s_mov_b32 s17, 0xbf1a4643
	v_fmac_f32_e32 v1, 0xbf1a4643, v60
	v_add_f32_e32 v18, v51, v62
	v_mul_f32_e32 v143, 0xbf763a35, v61
	v_sub_f32_e32 v126, v69, v63
	v_add_f32_e32 v131, v132, v131
	v_fma_f32 v132, v125, s16, -v141
	v_add_f32_e32 v1, v1, v0
	v_fma_f32 v0, v18, s2, -v143
	v_add_f32_e32 v19, v30, v46
	v_mul_f32_e32 v144, 0x3f06c442, v126
	v_sub_f32_e32 v127, v71, v49
	v_add_f32_e32 v131, v132, v131
	v_fma_f32 v132, v60, s17, -v142
	v_fmac_f32_e32 v143, 0xbe8c1d8e, v18
	v_add_f32_e32 v0, v44, v0
	v_fma_f32 v2, v19, s3, -v144
	v_add_f32_e32 v23, v29, v68
	v_mul_f32_e32 v145, 0x3f2c7751, v127
	v_sub_f32_e32 v128, v75, v74
	v_add_f32_e32 v138, v132, v131
	v_add_f32_e32 v131, v44, v143
	v_fmac_f32_e32 v144, 0xbf59a7d5, v19
	v_add_f32_e32 v0, v2, v0
	v_fma_f32 v2, v23, s6, -v145
	v_add_f32_e32 v24, v48, v70
	v_mul_f32_e32 v146, 0xbf65296c, v128
	v_sub_f32_e32 v133, v73, v72
	v_add_f32_e32 v131, v144, v131
	v_fmac_f32_e32 v145, 0x3f3d2fb0, v23
	v_add_f32_e32 v0, v2, v0
	v_fma_f32 v2, v24, s7, -v146
	v_add_f32_e32 v25, v52, v53
	v_mul_f32_e32 v147, 0xbe3c28d5, v133
	v_sub_f32_e32 v134, v64, v77
	;; [unrolled: 7-line block ×4, first 2 shown]
	v_add_f32_e32 v131, v147, v131
	v_fmac_f32_e32 v148, 0x3dbcf732, v26
	v_add_f32_e32 v0, v2, v0
	v_fma_f32 v2, v27, s16, -v149
	v_add_f32_e32 v28, v66, v65
	v_mul_f32_e32 v150, 0xbf4c4adb, v136
	v_add_f32_e32 v131, v148, v131
	v_fmac_f32_e32 v149, 0x3f6eb680, v27
	v_add_f32_e32 v0, v2, v0
	v_fma_f32 v2, v28, s17, -v150
	v_add_f32_e32 v131, v149, v131
	v_fmac_f32_e32 v150, 0xbf1a4643, v28
	v_add_f32_e32 v137, v150, v131
	v_mul_f32_e32 v131, 0x3dbcf732, v76
	v_mov_b32_e32 v132, v131
	v_mul_f32_e32 v145, 0xbf7ba420, v119
	v_fmac_f32_e32 v132, 0x3f7ee86f, v50
	v_mov_b32_e32 v139, v145
	v_add_f32_e32 v132, v45, v132
	v_fmac_f32_e32 v139, 0x3e3c28d5, v20
	v_mul_f32_e32 v146, 0xbe8c1d8e, v120
	v_add_f32_e32 v132, v139, v132
	v_mov_b32_e32 v139, v146
	v_fmac_f32_e32 v139, 0xbf763a35, v21
	v_mul_f32_e32 v147, 0x3f6eb680, v122
	v_add_f32_e32 v132, v139, v132
	v_mov_b32_e32 v139, v147
	;; [unrolled: 4-line block ×3, first 2 shown]
	v_mul_f32_e32 v12, 0xbf4c4adb, v50
	v_fmac_f32_e32 v139, 0x3f65296c, v14
	v_mul_f32_e32 v149, 0xbf59a7d5, v124
	v_add_f32_e32 v0, v2, v0
	v_mov_b32_e32 v2, v12
	v_mul_f32_e32 v13, 0x3f763a35, v20
	v_add_f32_e32 v132, v139, v132
	v_mov_b32_e32 v139, v149
	v_fmac_f32_e32 v2, 0xbf1a4643, v76
	v_mov_b32_e32 v3, v13
	v_fma_f32 v12, v76, s17, -v12
	v_fmac_f32_e32 v139, 0x3f06c442, v15
	v_mul_f32_e32 v150, 0xbf1a4643, v125
	v_add_f32_e32 v2, v45, v2
	v_fmac_f32_e32 v3, 0xbe8c1d8e, v119
	v_mul_f32_e32 v151, 0xbeb8f4ab, v21
	v_add_f32_e32 v12, v45, v12
	v_fma_f32 v13, v119, s2, -v13
	v_add_f32_e32 v132, v139, v132
	v_mov_b32_e32 v139, v150
	v_add_f32_e32 v2, v3, v2
	v_mov_b32_e32 v3, v151
	v_add_f32_e32 v12, v13, v12
	v_fma_f32 v13, v120, s16, -v151
	v_fmac_f32_e32 v139, 0xbf4c4adb, v16
	v_mul_f32_e32 v151, 0x3f3d2fb0, v60
	v_add_f32_e32 v132, v139, v132
	v_mov_b32_e32 v139, v151
	v_fmac_f32_e32 v3, 0x3f6eb680, v120
	v_mul_f32_e32 v152, 0xbf06c442, v22
	v_fmac_f32_e32 v139, 0xbf2c7751, v17
	v_add_f32_e32 v2, v3, v2
	v_mov_b32_e32 v3, v152
	v_add_f32_e32 v140, v139, v132
	v_mul_f32_e32 v132, 0xbf7ee86f, v61
	v_fmac_f32_e32 v3, 0xbf59a7d5, v122
	v_mul_f32_e32 v153, 0x3f7ee86f, v14
	v_add_f32_e32 v12, v13, v12
	v_fma_f32 v13, v122, s3, -v152
	v_mov_b32_e32 v139, v132
	v_mul_f32_e32 v152, 0xbe3c28d5, v126
	v_add_f32_e32 v2, v3, v2
	v_mov_b32_e32 v3, v153
	v_fmac_f32_e32 v139, 0x3dbcf732, v18
	v_mov_b32_e32 v141, v152
	v_fmac_f32_e32 v3, 0x3dbcf732, v123
	v_mul_f32_e32 v154, 0xbf2c7751, v15
	v_add_f32_e32 v12, v13, v12
	v_fma_f32 v13, v123, s15, -v153
	v_add_f32_e32 v139, v44, v139
	v_fmac_f32_e32 v141, 0xbf7ba420, v19
	v_mul_f32_e32 v153, 0x3f763a35, v127
	v_add_f32_e32 v2, v3, v2
	v_mov_b32_e32 v3, v154
	v_add_f32_e32 v139, v141, v139
	v_mov_b32_e32 v141, v153
	v_fmac_f32_e32 v3, 0x3f3d2fb0, v124
	v_mul_f32_e32 v155, 0xbe3c28d5, v16
	v_add_f32_e32 v12, v13, v12
	v_fma_f32 v13, v124, s6, -v154
	v_fmac_f32_e32 v141, 0xbe8c1d8e, v23
	v_mul_f32_e32 v154, 0x3eb8f4ab, v128
	v_add_f32_e32 v2, v3, v2
	v_mov_b32_e32 v3, v155
	v_add_f32_e32 v139, v141, v139
	v_mov_b32_e32 v141, v154
	v_fmac_f32_e32 v3, 0xbf7ba420, v125
	v_mul_f32_e32 v156, 0x3f65296c, v17
	v_add_f32_e32 v12, v13, v12
	v_fma_f32 v13, v125, s14, -v155
	;; [unrolled: 10-line block ×3, first 2 shown]
	v_fmac_f32_e32 v141, 0x3ee437d1, v25
	v_mul_f32_e32 v156, 0xbf06c442, v134
	v_add_f32_e32 v3, v3, v2
	v_fma_f32 v2, v18, s17, -v157
	v_fmac_f32_e32 v157, 0xbf1a4643, v18
	v_add_f32_e32 v139, v141, v139
	v_mov_b32_e32 v141, v156
	v_mul_f32_e32 v158, 0x3f763a35, v126
	v_add_f32_e32 v13, v13, v12
	v_add_f32_e32 v12, v44, v157
	v_fmac_f32_e32 v141, 0xbf59a7d5, v26
	v_mul_f32_e32 v157, 0x3f4c4adb, v135
	v_fma_f32 v4, v19, s2, -v158
	v_fmac_f32_e32 v158, 0xbe8c1d8e, v19
	v_add_f32_e32 v139, v141, v139
	v_mov_b32_e32 v141, v157
	v_add_f32_e32 v2, v44, v2
	v_mul_f32_e32 v159, 0xbeb8f4ab, v127
	v_add_f32_e32 v12, v158, v12
	v_fmac_f32_e32 v141, 0xbf1a4643, v27
	v_mul_f32_e32 v158, 0x3f2c7751, v136
	v_add_f32_e32 v2, v4, v2
	v_fma_f32 v4, v23, s16, -v159
	v_mul_f32_e32 v160, 0xbf06c442, v128
	v_fmac_f32_e32 v159, 0x3f6eb680, v23
	v_add_f32_e32 v139, v141, v139
	v_mov_b32_e32 v141, v158
	v_add_f32_e32 v2, v4, v2
	v_fma_f32 v4, v24, s3, -v160
	v_add_f32_e32 v12, v159, v12
	v_fmac_f32_e32 v160, 0xbf59a7d5, v24
	v_fmac_f32_e32 v141, 0x3f3d2fb0, v28
	v_mul_f32_e32 v159, 0x3ee437d1, v76
	v_mul_f32_e32 v161, 0x3f7ee86f, v133
	v_add_f32_e32 v12, v160, v12
	v_add_f32_e32 v139, v141, v139
	v_mov_b32_e32 v141, v159
	v_mul_f32_e32 v160, 0xbf1a4643, v119
	v_add_f32_e32 v2, v4, v2
	v_fma_f32 v4, v25, s15, -v161
	v_mul_f32_e32 v162, 0xbf2c7751, v134
	v_fmac_f32_e32 v161, 0x3dbcf732, v25
	v_fmac_f32_e32 v141, 0x3f65296c, v50
	v_mov_b32_e32 v142, v160
	v_add_f32_e32 v2, v4, v2
	v_fma_f32 v4, v26, s6, -v162
	v_mul_f32_e32 v163, 0xbe3c28d5, v135
	v_add_f32_e32 v12, v161, v12
	v_add_f32_e32 v141, v45, v141
	v_fmac_f32_e32 v142, 0x3f4c4adb, v20
	v_mul_f32_e32 v161, 0xbf7ba420, v120
	v_add_f32_e32 v2, v4, v2
	v_fma_f32 v4, v27, s14, -v163
	v_mul_f32_e32 v164, 0x3f65296c, v136
	v_fmac_f32_e32 v162, 0x3f3d2fb0, v26
	v_add_f32_e32 v141, v142, v141
	v_mov_b32_e32 v142, v161
	v_add_f32_e32 v2, v4, v2
	v_fma_f32 v4, v28, s7, -v164
	v_mul_f32_e32 v10, 0xbf06c442, v50
	v_add_f32_e32 v12, v162, v12
	v_fmac_f32_e32 v142, 0xbe3c28d5, v21
	v_mul_f32_e32 v162, 0xbe8c1d8e, v122
	v_add_f32_e32 v2, v4, v2
	v_mov_b32_e32 v4, v10
	v_mul_f32_e32 v11, 0x3f65296c, v20
	v_fmac_f32_e32 v163, 0xbf7ba420, v27
	v_add_f32_e32 v141, v142, v141
	v_mov_b32_e32 v142, v162
	v_fmac_f32_e32 v4, 0xbf59a7d5, v76
	v_mov_b32_e32 v5, v11
	v_add_f32_e32 v12, v163, v12
	v_fmac_f32_e32 v142, 0xbf763a35, v22
	v_mul_f32_e32 v163, 0x3f3d2fb0, v123
	v_add_f32_e32 v47, v47, v45
	v_add_f32_e32 v4, v45, v4
	v_fmac_f32_e32 v5, 0x3ee437d1, v119
	v_mul_f32_e32 v165, 0xbf7ee86f, v21
	v_fmac_f32_e32 v164, 0x3ee437d1, v28
	v_add_f32_e32 v141, v142, v141
	v_mov_b32_e32 v142, v163
	v_add_f32_e32 v47, v69, v47
	v_add_f32_e32 v4, v5, v4
	v_mov_b32_e32 v5, v165
	v_fma_f32 v10, v76, s3, -v10
	v_add_f32_e32 v12, v164, v12
	v_fmac_f32_e32 v142, 0xbf2c7751, v14
	v_mul_f32_e32 v164, 0x3f6eb680, v124
	v_add_f32_e32 v47, v71, v47
	v_fmac_f32_e32 v5, 0x3dbcf732, v120
	v_mul_f32_e32 v166, 0x3f4c4adb, v22
	v_add_f32_e32 v10, v45, v10
	v_fma_f32 v11, v119, s7, -v11
	v_add_f32_e32 v141, v142, v141
	v_mov_b32_e32 v142, v164
	v_add_f32_e32 v47, v75, v47
	v_add_f32_e32 v4, v5, v4
	v_mov_b32_e32 v5, v166
	v_add_f32_e32 v10, v11, v10
	v_fma_f32 v11, v120, s15, -v165
	v_fmac_f32_e32 v142, 0x3eb8f4ab, v15
	v_mul_f32_e32 v165, 0x3dbcf732, v125
	v_add_f32_e32 v47, v73, v47
	v_fmac_f32_e32 v5, 0xbf1a4643, v122
	v_mul_f32_e32 v167, 0xbeb8f4ab, v14
	v_add_f32_e32 v141, v142, v141
	v_mov_b32_e32 v142, v165
	v_add_f32_e32 v47, v64, v47
	v_add_f32_e32 v4, v5, v4
	v_mov_b32_e32 v5, v167
	v_add_f32_e32 v10, v11, v10
	v_fma_f32 v11, v122, s17, -v166
	v_fmac_f32_e32 v142, 0x3f7ee86f, v16
	v_mul_f32_e32 v166, 0xbf59a7d5, v60
	v_add_f32_e32 v47, v67, v47
	v_fmac_f32_e32 v5, 0x3f6eb680, v123
	v_mul_f32_e32 v168, 0xbe3c28d5, v15
	;; [unrolled: 12-line block ×3, first 2 shown]
	v_add_f32_e32 v10, v11, v10
	v_fma_f32 v11, v124, s14, -v168
	v_add_f32_e32 v142, v142, v141
	v_mov_b32_e32 v141, v167
	v_mul_f32_e32 v168, 0xbf4c4adb, v126
	v_add_f32_e32 v47, v121, v47
	v_add_f32_e32 v4, v5, v4
	v_mov_b32_e32 v5, v169
	v_fmac_f32_e32 v141, 0x3ee437d1, v18
	v_mov_b32_e32 v143, v168
	v_add_f32_e32 v47, v77, v47
	v_fmac_f32_e32 v5, 0x3f3d2fb0, v125
	v_mul_f32_e32 v170, 0xbf763a35, v17
	v_add_f32_e32 v10, v11, v10
	v_fma_f32 v11, v125, s6, -v169
	v_add_f32_e32 v141, v44, v141
	v_fmac_f32_e32 v143, 0xbf1a4643, v19
	v_mul_f32_e32 v169, 0x3e3c28d5, v127
	v_add_f32_e32 v47, v72, v47
	v_add_f32_e32 v4, v5, v4
	v_mov_b32_e32 v5, v170
	v_add_f32_e32 v141, v143, v141
	v_mov_b32_e32 v143, v169
	v_add_f32_e32 v47, v74, v47
	v_fmac_f32_e32 v5, 0xbe8c1d8e, v60
	v_mul_f32_e32 v171, 0xbf06c442, v61
	v_add_f32_e32 v10, v11, v10
	v_fma_f32 v11, v60, s2, -v170
	v_fmac_f32_e32 v143, 0xbf7ba420, v23
	v_mul_f32_e32 v170, 0x3f763a35, v128
	v_add_f32_e32 v47, v49, v47
	v_add_f32_e32 v5, v5, v4
	v_fma_f32 v4, v18, s3, -v171
	v_fmac_f32_e32 v171, 0xbf59a7d5, v18
	v_add_f32_e32 v141, v143, v141
	v_mov_b32_e32 v143, v170
	v_add_f32_e32 v47, v63, v47
	v_mul_f32_e32 v172, 0x3f65296c, v126
	v_add_f32_e32 v11, v11, v10
	v_add_f32_e32 v10, v44, v171
	v_fmac_f32_e32 v143, 0xbe8c1d8e, v24
	v_mul_f32_e32 v171, 0x3f2c7751, v133
	v_add_f32_e32 v31, v31, v47
	v_add_f32_e32 v47, v44, v62
	v_fma_f32 v6, v19, s7, -v172
	v_fmac_f32_e32 v172, 0x3ee437d1, v19
	v_add_f32_e32 v141, v143, v141
	v_mov_b32_e32 v143, v171
	v_add_f32_e32 v46, v46, v47
	v_add_f32_e32 v4, v44, v4
	v_mul_f32_e32 v173, 0xbf7ee86f, v127
	v_add_f32_e32 v10, v172, v10
	v_fmac_f32_e32 v143, 0x3f3d2fb0, v25
	v_mul_f32_e32 v172, 0xbeb8f4ab, v134
	v_add_f32_e32 v46, v68, v46
	v_add_f32_e32 v4, v6, v4
	v_fma_f32 v6, v23, s15, -v173
	v_mul_f32_e32 v174, 0x3f4c4adb, v128
	v_fmac_f32_e32 v173, 0x3dbcf732, v23
	v_add_f32_e32 v141, v143, v141
	v_mov_b32_e32 v143, v172
	v_add_f32_e32 v46, v70, v46
	v_add_f32_e32 v4, v6, v4
	v_fma_f32 v6, v24, s17, -v174
	v_mul_f32_e32 v175, 0xbeb8f4ab, v133
	v_add_f32_e32 v10, v173, v10
	v_fmac_f32_e32 v143, 0x3f6eb680, v26
	v_mul_f32_e32 v173, 0xbf7ee86f, v135
	v_add_f32_e32 v46, v53, v46
	v_add_f32_e32 v4, v6, v4
	v_fma_f32 v6, v25, s16, -v175
	v_mul_f32_e32 v176, 0xbe3c28d5, v134
	v_fmac_f32_e32 v174, 0xbf1a4643, v24
	v_add_f32_e32 v141, v143, v141
	v_mov_b32_e32 v143, v173
	v_add_f32_e32 v46, v55, v46
	v_add_f32_e32 v4, v6, v4
	v_fma_f32 v6, v26, s14, -v176
	;; [unrolled: 14-line block ×3, first 2 shown]
	v_mul_f32_e32 v8, 0xbe3c28d5, v50
	v_add_f32_e32 v10, v175, v10
	v_fmac_f32_e32 v176, 0xbf7ba420, v26
	v_fmac_f32_e32 v143, 0xbf59a7d5, v28
	v_mul_f32_e32 v175, 0x3f3d2fb0, v76
	v_add_f32_e32 v46, v66, v46
	v_add_f32_e32 v4, v6, v4
	v_mov_b32_e32 v6, v8
	v_mul_f32_e32 v9, 0x3eb8f4ab, v20
	v_add_f32_e32 v10, v176, v10
	v_add_f32_e32 v141, v143, v141
	v_mov_b32_e32 v143, v175
	v_mul_f32_e32 v176, 0x3dbcf732, v119
	v_add_f32_e32 v46, v59, v46
	v_fmac_f32_e32 v6, 0xbf7ba420, v76
	v_mov_b32_e32 v7, v9
	v_fmac_f32_e32 v177, 0x3f3d2fb0, v27
	v_fmac_f32_e32 v143, 0x3f2c7751, v50
	v_mov_b32_e32 v144, v176
	v_add_f32_e32 v46, v54, v46
	v_add_f32_e32 v6, v45, v6
	v_fmac_f32_e32 v7, 0x3f6eb680, v119
	v_mul_f32_e32 v179, 0xbf06c442, v21
	v_add_f32_e32 v10, v177, v10
	v_add_f32_e32 v143, v45, v143
	v_fmac_f32_e32 v144, 0x3f7ee86f, v20
	v_mul_f32_e32 v177, 0xbf1a4643, v120
	v_add_f32_e32 v46, v52, v46
	v_add_f32_e32 v6, v7, v6
	v_mov_b32_e32 v7, v179
	v_fmac_f32_e32 v178, 0xbe8c1d8e, v28
	v_add_f32_e32 v143, v144, v143
	v_mov_b32_e32 v144, v177
	v_add_f32_e32 v46, v48, v46
	v_fmac_f32_e32 v7, 0xbf59a7d5, v120
	v_mul_f32_e32 v180, 0x3f2c7751, v22
	v_fma_f32 v8, v76, s14, -v8
	v_add_f32_e32 v10, v178, v10
	v_fmac_f32_e32 v144, 0x3f4c4adb, v21
	v_mul_f32_e32 v178, 0xbf7ba420, v122
	v_add_f32_e32 v29, v29, v46
	v_add_f32_e32 v6, v7, v6
	v_mov_b32_e32 v7, v180
	v_add_f32_e32 v8, v45, v8
	v_fma_f32 v9, v119, s16, -v9
	v_add_f32_e32 v143, v144, v143
	v_mov_b32_e32 v144, v178
	v_add_f32_e32 v29, v30, v29
	v_fmac_f32_e32 v131, 0xbf7ee86f, v50
	v_fmac_f32_e32 v7, 0x3f3d2fb0, v122
	v_mul_f32_e32 v181, 0xbf4c4adb, v14
	v_add_f32_e32 v8, v9, v8
	v_fma_f32 v9, v120, s3, -v179
	v_fmac_f32_e32 v144, 0x3e3c28d5, v22
	v_mul_f32_e32 v179, 0xbf59a7d5, v123
	v_add_f32_e32 v30, v51, v29
	v_add_f32_e32 v29, v45, v131
	v_fmac_f32_e32 v145, 0xbe3c28d5, v20
	v_add_f32_e32 v6, v7, v6
	v_mov_b32_e32 v7, v181
	v_add_f32_e32 v143, v144, v143
	v_mov_b32_e32 v144, v179
	v_add_f32_e32 v29, v145, v29
	v_fmac_f32_e32 v146, 0x3f763a35, v21
	v_fmac_f32_e32 v7, 0xbf1a4643, v123
	v_mul_f32_e32 v182, 0x3f65296c, v15
	v_add_f32_e32 v8, v9, v8
	v_fma_f32 v9, v122, s6, -v180
	v_fmac_f32_e32 v144, 0xbf06c442, v14
	v_mul_f32_e32 v180, 0xbe8c1d8e, v124
	v_add_f32_e32 v29, v146, v29
	v_fmac_f32_e32 v147, 0x3eb8f4ab, v22
	v_add_f32_e32 v6, v7, v6
	v_mov_b32_e32 v7, v182
	v_add_f32_e32 v143, v144, v143
	v_mov_b32_e32 v144, v180
	v_add_f32_e32 v29, v147, v29
	v_fmac_f32_e32 v148, 0xbf65296c, v14
	v_fmac_f32_e32 v7, 0x3ee437d1, v124
	v_mul_f32_e32 v183, 0xbf763a35, v16
	v_add_f32_e32 v8, v9, v8
	v_fma_f32 v9, v123, s17, -v181
	v_fmac_f32_e32 v144, 0xbf763a35, v15
	v_mul_f32_e32 v181, 0x3ee437d1, v125
	v_add_f32_e32 v29, v148, v29
	v_fmac_f32_e32 v149, 0xbf06c442, v15
	v_add_f32_e32 v6, v7, v6
	v_mov_b32_e32 v7, v183
	v_add_f32_e32 v143, v144, v143
	v_mov_b32_e32 v144, v181
	v_add_f32_e32 v29, v149, v29
	v_fmac_f32_e32 v150, 0x3f4c4adb, v16
	v_fmac_f32_e32 v7, 0xbe8c1d8e, v125
	v_mul_f32_e32 v184, 0x3f7ee86f, v17
	v_add_f32_e32 v8, v9, v8
	v_fma_f32 v9, v124, s7, -v182
	v_fmac_f32_e32 v144, 0xbf65296c, v16
	v_mul_f32_e32 v182, 0x3f6eb680, v60
	v_add_f32_e32 v29, v150, v29
	v_fmac_f32_e32 v151, 0x3f2c7751, v17
	v_add_f32_e32 v6, v7, v6
	v_mov_b32_e32 v7, v184
	v_add_f32_e32 v143, v144, v143
	v_mov_b32_e32 v144, v182
	v_add_f32_e32 v47, v151, v29
	v_fma_f32 v29, v18, s15, -v132
	v_fmac_f32_e32 v7, 0x3dbcf732, v60
	v_mul_f32_e32 v185, 0xbe3c28d5, v61
	v_add_f32_e32 v8, v9, v8
	v_fma_f32 v9, v125, s2, -v183
	v_fmac_f32_e32 v144, 0xbeb8f4ab, v17
	v_mul_f32_e32 v183, 0xbf2c7751, v61
	v_add_f32_e32 v29, v44, v29
	v_fma_f32 v46, v19, s14, -v152
	v_add_f32_e32 v7, v7, v6
	v_fma_f32 v6, v18, s14, -v185
	;; [unrolled: 2-line block ×3, first 2 shown]
	v_fmac_f32_e32 v185, 0xbf7ba420, v18
	v_add_f32_e32 v144, v144, v143
	v_mov_b32_e32 v143, v183
	v_mul_f32_e32 v184, 0xbf7ee86f, v126
	v_add_f32_e32 v29, v46, v29
	v_fma_f32 v46, v23, s2, -v153
	v_add_f32_e32 v9, v9, v8
	v_add_f32_e32 v8, v44, v185
	v_fmac_f32_e32 v143, 0x3f3d2fb0, v18
	v_mov_b32_e32 v185, v184
	v_add_f32_e32 v29, v46, v29
	v_fma_f32 v46, v24, s16, -v154
	v_mul_f32_e32 v186, 0x3eb8f4ab, v126
	v_add_f32_e32 v143, v44, v143
	v_fmac_f32_e32 v185, 0x3dbcf732, v19
	v_add_f32_e32 v29, v46, v29
	v_fma_f32 v46, v25, s7, -v155
	v_fma_f32 v187, v19, s16, -v186
	v_fmac_f32_e32 v186, 0x3f6eb680, v19
	v_add_f32_e32 v143, v185, v143
	v_mul_f32_e32 v185, 0xbf4c4adb, v127
	v_add_f32_e32 v29, v46, v29
	v_fma_f32 v46, v26, s3, -v156
	v_add_f32_e32 v6, v44, v6
	v_add_f32_e32 v8, v186, v8
	v_mov_b32_e32 v186, v185
	v_add_f32_e32 v29, v46, v29
	v_fma_f32 v46, v27, s17, -v157
	v_add_f32_e32 v6, v187, v6
	v_mul_f32_e32 v187, 0xbf06c442, v127
	v_fmac_f32_e32 v186, 0xbf1a4643, v23
	v_add_f32_e32 v29, v46, v29
	v_fma_f32 v46, v28, s6, -v158
	v_fmac_f32_e32 v159, 0xbf65296c, v50
	v_fma_f32 v188, v23, s3, -v187
	v_fmac_f32_e32 v187, 0xbf59a7d5, v23
	v_add_f32_e32 v143, v186, v143
	v_mul_f32_e32 v186, 0xbe3c28d5, v128
	v_add_f32_e32 v46, v46, v29
	v_add_f32_e32 v29, v45, v159
	v_fmac_f32_e32 v160, 0xbf4c4adb, v20
	v_add_f32_e32 v8, v187, v8
	v_mov_b32_e32 v187, v186
	v_add_f32_e32 v29, v160, v29
	v_fmac_f32_e32 v161, 0x3e3c28d5, v21
	v_add_f32_e32 v6, v188, v6
	v_mul_f32_e32 v188, 0x3f2c7751, v128
	v_fmac_f32_e32 v187, 0xbf7ba420, v24
	v_add_f32_e32 v29, v161, v29
	v_fmac_f32_e32 v162, 0x3f763a35, v22
	v_fma_f32 v189, v24, s6, -v188
	v_fmac_f32_e32 v188, 0x3f3d2fb0, v24
	v_add_f32_e32 v143, v187, v143
	v_mul_f32_e32 v187, 0x3f06c442, v133
	v_add_f32_e32 v29, v162, v29
	v_fmac_f32_e32 v163, 0x3f2c7751, v14
	v_add_f32_e32 v8, v188, v8
	v_mov_b32_e32 v188, v187
	v_add_f32_e32 v29, v163, v29
	v_fmac_f32_e32 v164, 0xbeb8f4ab, v15
	v_add_f32_e32 v6, v189, v6
	v_mul_f32_e32 v189, 0xbf4c4adb, v133
	v_fmac_f32_e32 v188, 0xbf59a7d5, v25
	v_add_f32_e32 v29, v164, v29
	v_fmac_f32_e32 v165, 0xbf7ee86f, v16
	v_fma_f32 v190, v25, s17, -v189
	v_fmac_f32_e32 v189, 0xbf1a4643, v25
	v_add_f32_e32 v143, v188, v143
	v_mul_f32_e32 v188, 0x3f763a35, v134
	v_add_f32_e32 v29, v165, v29
	v_fmac_f32_e32 v166, 0xbf06c442, v17
	v_add_f32_e32 v8, v189, v8
	v_mov_b32_e32 v189, v188
	v_add_f32_e32 v49, v166, v29
	v_fma_f32 v29, v18, s7, -v167
	v_add_f32_e32 v6, v190, v6
	v_mul_f32_e32 v190, 0x3f65296c, v134
	v_fmac_f32_e32 v189, 0xbe8c1d8e, v26
	v_add_f32_e32 v29, v44, v29
	v_fma_f32 v48, v19, s17, -v168
	v_fma_f32 v191, v26, s7, -v190
	v_fmac_f32_e32 v190, 0x3ee437d1, v26
	v_add_f32_e32 v143, v189, v143
	v_mul_f32_e32 v189, 0x3f65296c, v135
	v_add_f32_e32 v29, v48, v29
	v_fma_f32 v48, v23, s14, -v169
	v_add_f32_e32 v8, v190, v8
	v_mov_b32_e32 v190, v189
	v_add_f32_e32 v29, v48, v29
	v_fma_f32 v48, v24, s2, -v170
	v_add_f32_e32 v6, v191, v6
	v_mul_f32_e32 v191, 0xbf763a35, v135
	v_fmac_f32_e32 v190, 0x3ee437d1, v27
	v_add_f32_e32 v29, v48, v29
	v_fma_f32 v48, v25, s6, -v171
	v_fma_f32 v192, v27, s2, -v191
	v_fmac_f32_e32 v191, 0xbe8c1d8e, v27
	v_add_f32_e32 v143, v190, v143
	v_mul_f32_e32 v190, 0x3eb8f4ab, v136
	v_add_f32_e32 v29, v48, v29
	v_fma_f32 v48, v26, s16, -v172
	v_add_f32_e32 v6, v192, v6
	v_mul_f32_e32 v192, 0x3f7ee86f, v136
	v_add_f32_e32 v8, v191, v8
	v_mov_b32_e32 v191, v190
	v_add_f32_e32 v29, v48, v29
	v_fma_f32 v48, v27, s15, -v173
	v_fma_f32 v193, v28, s15, -v192
	v_fmac_f32_e32 v192, 0x3dbcf732, v28
	v_fmac_f32_e32 v191, 0x3f6eb680, v28
	v_mul_f32_e32 v76, 0x3f6eb680, v76
	v_add_f32_e32 v29, v48, v29
	v_fma_f32 v48, v28, s3, -v174
	v_fmac_f32_e32 v175, 0xbf2c7751, v50
	v_add_f32_e32 v8, v192, v8
	v_add_f32_e32 v143, v191, v143
	v_mov_b32_e32 v191, v76
	v_mul_f32_e32 v192, 0x3f3d2fb0, v119
	v_add_f32_e32 v48, v48, v29
	v_add_f32_e32 v29, v45, v175
	v_fmac_f32_e32 v176, 0xbf7ee86f, v20
	v_fmac_f32_e32 v191, 0x3eb8f4ab, v50
	v_mov_b32_e32 v119, v192
	v_add_f32_e32 v29, v176, v29
	v_fmac_f32_e32 v177, 0xbf4c4adb, v21
	v_add_f32_e32 v191, v45, v191
	v_fmac_f32_e32 v119, 0x3f2c7751, v20
	;; [unrolled: 2-line block ×3, first 2 shown]
	v_add_f32_e32 v119, v119, v191
	v_mul_f32_e32 v191, 0x3ee437d1, v120
	v_add_f32_e32 v29, v178, v29
	v_fmac_f32_e32 v179, 0x3f06c442, v14
	v_mov_b32_e32 v120, v191
	v_add_f32_e32 v29, v179, v29
	v_fmac_f32_e32 v180, 0x3f763a35, v15
	v_fmac_f32_e32 v120, 0x3f65296c, v21
	v_mul_f32_e32 v122, 0x3dbcf732, v122
	v_add_f32_e32 v29, v180, v29
	v_fmac_f32_e32 v181, 0x3f65296c, v16
	v_add_f32_e32 v119, v120, v119
	v_mov_b32_e32 v120, v122
	v_add_f32_e32 v29, v181, v29
	v_fmac_f32_e32 v182, 0x3eb8f4ab, v17
	v_fmac_f32_e32 v120, 0x3f7ee86f, v22
	v_mul_f32_e32 v123, 0xbe8c1d8e, v123
	v_add_f32_e32 v52, v182, v29
	v_fma_f32 v29, v18, s6, -v183
	v_add_f32_e32 v119, v120, v119
	v_mov_b32_e32 v120, v123
	v_add_f32_e32 v29, v44, v29
	v_fma_f32 v51, v19, s15, -v184
	v_fmac_f32_e32 v120, 0x3f763a35, v14
	v_mul_f32_e32 v124, 0xbf1a4643, v124
	v_add_f32_e32 v29, v51, v29
	v_fma_f32 v51, v23, s17, -v185
	v_add_f32_e32 v119, v120, v119
	v_mov_b32_e32 v120, v124
	v_add_f32_e32 v29, v51, v29
	v_fma_f32 v51, v24, s14, -v186
	;; [unrolled: 8-line block ×4, first 2 shown]
	v_fmac_f32_e32 v76, 0xbeb8f4ab, v50
	v_fmac_f32_e32 v120, 0x3e3c28d5, v17
	v_mul_f32_e32 v61, 0xbeb8f4ab, v61
	v_add_f32_e32 v51, v51, v29
	v_add_f32_e32 v29, v45, v76
	v_fmac_f32_e32 v192, 0xbf2c7751, v20
	v_add_f32_e32 v120, v120, v119
	v_mov_b32_e32 v119, v61
	v_mul_f32_e32 v126, 0xbf2c7751, v126
	v_add_f32_e32 v20, v192, v29
	v_fmac_f32_e32 v191, 0xbf65296c, v21
	v_add_f32_e32 v6, v193, v6
	v_fmac_f32_e32 v119, 0x3f6eb680, v18
	v_mov_b32_e32 v193, v126
	v_add_f32_e32 v20, v191, v20
	v_fmac_f32_e32 v122, 0xbf7ee86f, v22
	v_add_f32_e32 v119, v44, v119
	v_fmac_f32_e32 v193, 0x3f3d2fb0, v19
	v_mul_f32_e32 v127, 0xbf65296c, v127
	v_add_f32_e32 v20, v122, v20
	v_fmac_f32_e32 v123, 0xbf763a35, v14
	v_add_f32_e32 v119, v193, v119
	v_mov_b32_e32 v193, v127
	v_add_f32_e32 v14, v123, v20
	v_fmac_f32_e32 v124, 0xbf4c4adb, v15
	v_fmac_f32_e32 v193, 0x3ee437d1, v23
	v_mul_f32_e32 v128, 0xbf7ee86f, v128
	v_add_f32_e32 v14, v124, v14
	v_fmac_f32_e32 v125, 0xbf06c442, v16
	v_add_f32_e32 v119, v193, v119
	v_mov_b32_e32 v193, v128
	v_add_f32_e32 v14, v125, v14
	v_fmac_f32_e32 v60, 0xbe3c28d5, v17
	v_fmac_f32_e32 v193, 0x3dbcf732, v24
	v_mul_f32_e32 v133, 0xbf763a35, v133
	v_add_f32_e32 v15, v60, v14
	v_fma_f32 v14, v18, s16, -v61
	v_add_f32_e32 v119, v193, v119
	v_mov_b32_e32 v193, v133
	v_add_f32_e32 v14, v44, v14
	v_fma_f32 v16, v19, s6, -v126
	v_fmac_f32_e32 v193, 0xbe8c1d8e, v25
	v_mul_f32_e32 v134, 0xbf4c4adb, v134
	v_add_f32_e32 v14, v16, v14
	v_fma_f32 v16, v23, s7, -v127
	v_add_f32_e32 v119, v193, v119
	v_mov_b32_e32 v193, v134
	v_add_f32_e32 v14, v16, v14
	v_fma_f32 v16, v24, s15, -v128
	;; [unrolled: 8-line block ×4, first 2 shown]
	v_fmac_f32_e32 v193, 0xbf7ba420, v28
	v_add_f32_e32 v14, v16, v14
	v_mul_u32_u24_e32 v16, 51, v194
	v_add_f32_e32 v119, v193, v119
	v_add_lshl_u32 v16, v16, v195, 3
	ds_write2_b64 v16, v[30:31], v[119:120] offset1:3
	ds_write2_b64 v16, v[143:144], v[141:142] offset0:6 offset1:9
	ds_write2_b64 v16, v[139:140], v[137:138] offset0:12 offset1:15
	;; [unrolled: 1-line block ×7, first 2 shown]
	ds_write_b64 v16, v[14:15] offset:384
.LBB0_21:
	s_or_b64 exec, exec, s[4:5]
	s_waitcnt lgkmcnt(0)
	; wave barrier
	s_waitcnt lgkmcnt(0)
	ds_read2_b64 v[2:5], v129 offset1:51
	ds_read2_b64 v[6:9], v129 offset0:102 offset1:153
	ds_read2_b64 v[10:13], v129 offset0:204 offset1:255
	v_add_u32_e32 v1, 0x800, v129
	ds_read2_b64 v[14:17], v1 offset0:50 offset1:101
	ds_read2_b64 v[18:21], v1 offset0:152 offset1:203
	v_add_u32_e32 v44, 0xc00, v129
	s_waitcnt lgkmcnt(3)
	v_mul_f32_e32 v45, v41, v7
	v_fmac_f32_e32 v45, v40, v6
	v_mul_f32_e32 v6, v41, v6
	v_fma_f32 v6, v40, v7, -v6
	s_waitcnt lgkmcnt(2)
	v_mul_f32_e32 v7, v43, v11
	ds_read2_b64 v[22:25], v44 offset0:126 offset1:177
	v_fmac_f32_e32 v7, v42, v10
	v_mul_f32_e32 v10, v43, v10
	v_add_u32_e32 v0, 0x1000, v129
	v_fma_f32 v10, v42, v11, -v10
	s_waitcnt lgkmcnt(2)
	v_mul_f32_e32 v11, v37, v15
	ds_read2_b64 v[26:29], v0 offset0:100 offset1:151
	v_fmac_f32_e32 v11, v36, v14
	v_mul_f32_e32 v14, v37, v14
	v_fma_f32 v14, v36, v15, -v14
	s_waitcnt lgkmcnt(2)
	v_mul_f32_e32 v15, v39, v19
	v_fmac_f32_e32 v15, v38, v18
	v_mul_f32_e32 v18, v39, v18
	v_fma_f32 v18, v38, v19, -v18
	s_waitcnt lgkmcnt(1)
	v_mul_f32_e32 v19, v33, v23
	;; [unrolled: 5-line block ×3, first 2 shown]
	v_fmac_f32_e32 v23, v34, v26
	v_mul_f32_e32 v26, v35, v26
	v_fma_f32 v26, v34, v27, -v26
	v_mul_f32_e32 v27, v41, v9
	v_fmac_f32_e32 v27, v40, v8
	v_mul_f32_e32 v8, v41, v8
	v_fma_f32 v40, v40, v9, -v8
	v_mul_f32_e32 v41, v43, v13
	v_mul_f32_e32 v8, v43, v12
	v_fmac_f32_e32 v41, v42, v12
	v_fma_f32 v42, v42, v13, -v8
	v_mul_f32_e32 v43, v37, v17
	v_mul_f32_e32 v8, v37, v16
	v_fmac_f32_e32 v43, v36, v16
	;; [unrolled: 4-line block ×5, first 2 shown]
	v_fma_f32 v28, v34, v29, -v8
	v_add_f32_e32 v8, v45, v23
	v_add_f32_e32 v13, v7, v19
	;; [unrolled: 1-line block ×5, first 2 shown]
	v_sub_f32_e32 v11, v15, v11
	v_add_f32_e32 v15, v13, v8
	v_sub_f32_e32 v7, v7, v19
	v_add_f32_e32 v19, v14, v18
	v_sub_f32_e32 v14, v18, v14
	v_add_f32_e32 v18, v16, v9
	v_add_f32_e32 v15, v17, v15
	v_sub_f32_e32 v10, v10, v22
	v_sub_f32_e32 v22, v13, v8
	;; [unrolled: 1-line block ×4, first 2 shown]
	v_add_f32_e32 v17, v19, v18
	v_add_f32_e32 v2, v2, v15
	v_mad_u64_u32 v[30:31], s[2:3], s10, v198, 0
	v_sub_f32_e32 v12, v45, v23
	v_sub_f32_e32 v6, v6, v26
	;; [unrolled: 1-line block ×5, first 2 shown]
	v_add_f32_e32 v26, v11, v7
	v_add_f32_e32 v29, v14, v10
	v_sub_f32_e32 v32, v11, v7
	v_sub_f32_e32 v33, v14, v10
	v_add_f32_e32 v3, v3, v17
	v_mov_b32_e32 v34, v2
	v_sub_f32_e32 v11, v12, v11
	v_sub_f32_e32 v14, v6, v14
	;; [unrolled: 1-line block ×4, first 2 shown]
	v_add_f32_e32 v12, v26, v12
	v_add_f32_e32 v6, v29, v6
	v_mul_f32_e32 v8, 0x3f4a47b2, v8
	v_mul_f32_e32 v9, 0x3f4a47b2, v9
	;; [unrolled: 1-line block ×6, first 2 shown]
	s_mov_b32 s2, 0xbf5ff5aa
	v_fmac_f32_e32 v34, 0xbf955555, v15
	v_mov_b32_e32 v15, v3
	s_mov_b32 s3, 0x3f3bfb3b
	s_mov_b32 s4, 0xbf3bfb3b
	v_mul_f32_e32 v32, 0xbf5ff5aa, v7
	v_mul_f32_e32 v33, 0xbf5ff5aa, v10
	v_fmac_f32_e32 v15, 0xbf955555, v17
	v_fma_f32 v17, v22, s3, -v18
	v_fma_f32 v18, v23, s3, -v19
	;; [unrolled: 1-line block ×3, first 2 shown]
	v_fmac_f32_e32 v8, 0x3d64c772, v13
	v_fma_f32 v13, v23, s4, -v9
	v_fmac_f32_e32 v9, 0x3d64c772, v16
	v_fma_f32 v16, v7, s2, -v26
	v_fma_f32 v22, v10, s2, -v29
	s_mov_b32 s5, 0x3eae86e6
	v_fmac_f32_e32 v26, 0xbeae86e6, v11
	v_fmac_f32_e32 v29, 0xbeae86e6, v14
	v_fma_f32 v23, v11, s5, -v32
	v_fma_f32 v14, v14, s5, -v33
	v_add_f32_e32 v17, v17, v34
	v_add_f32_e32 v18, v18, v15
	v_fmac_f32_e32 v16, 0xbee1c552, v12
	v_fmac_f32_e32 v22, 0xbee1c552, v6
	v_add_f32_e32 v32, v8, v34
	v_add_f32_e32 v33, v9, v15
	;; [unrolled: 1-line block ×4, first 2 shown]
	v_fmac_f32_e32 v26, 0xbee1c552, v12
	v_fmac_f32_e32 v29, 0xbee1c552, v6
	;; [unrolled: 1-line block ×4, first 2 shown]
	v_sub_f32_e32 v10, v17, v22
	v_add_f32_e32 v11, v16, v18
	v_add_f32_e32 v12, v22, v17
	v_sub_f32_e32 v13, v18, v16
	v_add_f32_e32 v18, v27, v25
	v_sub_f32_e32 v22, v27, v25
	v_add_f32_e32 v25, v41, v21
	v_add_f32_e32 v6, v29, v32
	v_sub_f32_e32 v7, v33, v26
	v_add_f32_e32 v8, v14, v19
	v_sub_f32_e32 v14, v19, v14
	v_sub_f32_e32 v16, v32, v29
	v_add_f32_e32 v17, v26, v33
	v_add_f32_e32 v19, v40, v28
	;; [unrolled: 1-line block ×5, first 2 shown]
	v_sub_f32_e32 v9, v15, v23
	v_add_f32_e32 v15, v23, v15
	v_sub_f32_e32 v23, v40, v28
	v_add_f32_e32 v28, v36, v20
	v_add_f32_e32 v33, v26, v19
	v_sub_f32_e32 v34, v25, v18
	v_sub_f32_e32 v18, v18, v27
	;; [unrolled: 1-line block ×3, first 2 shown]
	v_add_f32_e32 v27, v27, v32
	v_sub_f32_e32 v21, v41, v21
	v_sub_f32_e32 v24, v42, v24
	v_sub_f32_e32 v29, v37, v43
	v_sub_f32_e32 v20, v20, v36
	v_sub_f32_e32 v35, v26, v19
	v_sub_f32_e32 v19, v19, v28
	v_sub_f32_e32 v26, v28, v26
	v_add_f32_e32 v28, v28, v33
	v_add_f32_e32 v4, v4, v27
	;; [unrolled: 1-line block ×4, first 2 shown]
	v_sub_f32_e32 v38, v29, v21
	v_sub_f32_e32 v39, v20, v24
	;; [unrolled: 1-line block ×4, first 2 shown]
	v_add_f32_e32 v5, v5, v28
	v_mov_b32_e32 v40, v4
	v_sub_f32_e32 v29, v22, v29
	v_sub_f32_e32 v20, v23, v20
	v_add_f32_e32 v22, v36, v22
	v_add_f32_e32 v23, v37, v23
	v_mul_f32_e32 v18, 0x3f4a47b2, v18
	v_mul_f32_e32 v19, 0x3f4a47b2, v19
	;; [unrolled: 1-line block ×8, first 2 shown]
	v_fmac_f32_e32 v40, 0xbf955555, v27
	v_mov_b32_e32 v27, v5
	v_fmac_f32_e32 v27, 0xbf955555, v28
	v_fma_f32 v28, v34, s3, -v32
	v_fma_f32 v32, v35, s3, -v33
	;; [unrolled: 1-line block ×3, first 2 shown]
	v_fmac_f32_e32 v18, 0x3d64c772, v25
	v_fma_f32 v25, v35, s4, -v19
	v_fmac_f32_e32 v19, 0x3d64c772, v26
	v_fma_f32 v26, v21, s2, -v36
	;; [unrolled: 2-line block ×4, first 2 shown]
	v_fma_f32 v34, v20, s5, -v39
	v_add_f32_e32 v35, v18, v40
	v_add_f32_e32 v38, v19, v27
	;; [unrolled: 1-line block ×6, first 2 shown]
	v_fmac_f32_e32 v36, 0xbee1c552, v22
	v_fmac_f32_e32 v37, 0xbee1c552, v23
	;; [unrolled: 1-line block ×6, first 2 shown]
	v_add_f32_e32 v18, v37, v35
	v_sub_f32_e32 v19, v38, v36
	v_add_f32_e32 v20, v34, v33
	v_sub_f32_e32 v21, v27, v29
	v_sub_f32_e32 v22, v28, v24
	v_add_f32_e32 v23, v26, v32
	v_add_f32_e32 v24, v24, v28
	v_sub_f32_e32 v25, v32, v26
	v_sub_f32_e32 v26, v33, v34
	v_add_f32_e32 v27, v29, v27
	v_sub_f32_e32 v28, v35, v37
	v_add_f32_e32 v29, v36, v38
	s_waitcnt lgkmcnt(0)
	; wave barrier
	ds_write2_b64 v129, v[2:3], v[6:7] offset1:51
	ds_write2_b64 v129, v[8:9], v[10:11] offset0:102 offset1:153
	ds_write2_b64 v129, v[12:13], v[14:15] offset0:204 offset1:255
	;; [unrolled: 1-line block ×6, first 2 shown]
	s_waitcnt lgkmcnt(0)
	; wave barrier
	s_waitcnt lgkmcnt(0)
	ds_read2_b64 v[2:5], v129 offset1:51
	ds_read2_b64 v[6:9], v1 offset0:50 offset1:101
	ds_read2_b64 v[10:13], v1 offset0:152 offset1:203
	;; [unrolled: 1-line block ×6, first 2 shown]
	s_waitcnt lgkmcnt(5)
	v_mul_f32_e32 v32, v106, v9
	v_fmac_f32_e32 v32, v105, v8
	v_mul_f32_e32 v8, v106, v8
	v_fma_f32 v9, v105, v9, -v8
	s_waitcnt lgkmcnt(4)
	v_mul_f32_e32 v8, v108, v10
	v_mul_f32_e32 v33, v108, v11
	v_fma_f32 v11, v107, v11, -v8
	v_mul_f32_e32 v8, v110, v12
	v_mul_f32_e32 v34, v110, v13
	v_fma_f32 v13, v109, v13, -v8
	s_waitcnt lgkmcnt(2)
	v_mul_f32_e32 v8, v112, v18
	v_mul_f32_e32 v35, v112, v19
	v_fma_f32 v19, v111, v19, -v8
	v_mul_f32_e32 v8, v114, v20
	v_mul_f32_e32 v36, v114, v21
	v_fma_f32 v21, v113, v21, -v8
	s_waitcnt lgkmcnt(0)
	v_mul_f32_e32 v8, v116, v26
	v_fmac_f32_e32 v33, v107, v10
	v_mul_f32_e32 v37, v116, v27
	v_fma_f32 v27, v115, v27, -v8
	v_mul_f32_e32 v38, v118, v29
	v_mul_f32_e32 v8, v118, v28
	v_fmac_f32_e32 v34, v109, v12
	v_fmac_f32_e32 v35, v111, v18
	;; [unrolled: 1-line block ×5, first 2 shown]
	v_fma_f32 v29, v117, v29, -v8
	v_sub_f32_e32 v8, v2, v32
	v_sub_f32_e32 v9, v3, v9
	;; [unrolled: 1-line block ×4, first 2 shown]
	v_fma_f32 v2, v2, 2.0, -v8
	v_fma_f32 v3, v3, 2.0, -v9
	;; [unrolled: 1-line block ×4, first 2 shown]
	v_sub_f32_e32 v12, v14, v34
	v_sub_f32_e32 v13, v15, v13
	;; [unrolled: 1-line block ×10, first 2 shown]
	v_fma_f32 v14, v14, 2.0, -v12
	v_fma_f32 v15, v15, 2.0, -v13
	;; [unrolled: 1-line block ×10, first 2 shown]
	ds_write_b64 v129, v[8:9] offset:2856
	ds_write2_b64 v129, v[2:3], v[4:5] offset1:51
	ds_write2_b64 v1, v[10:11], v[12:13] offset0:152 offset1:203
	ds_write2_b64 v129, v[14:15], v[16:17] offset0:102 offset1:153
	;; [unrolled: 1-line block ×4, first 2 shown]
	ds_write_b64 v129, v[6:7] offset:2448
	ds_write2_b64 v0, v[26:27], v[28:29] offset0:100 offset1:151
	s_waitcnt lgkmcnt(0)
	; wave barrier
	s_waitcnt lgkmcnt(0)
	ds_read2_b64 v[2:5], v129 offset1:51
	v_mov_b32_e32 v6, v31
	v_mov_b32_e32 v16, s13
	s_mul_hi_u32 s7, s8, 0xfffffe57
	s_mul_i32 s6, s9, 0xfffffe57
	s_waitcnt lgkmcnt(0)
	v_mul_f32_e32 v7, v104, v3
	v_fmac_f32_e32 v7, v103, v2
	v_cvt_f64_f32_e32 v[7:8], v7
	v_mul_f32_e32 v2, v104, v2
	v_fma_f32 v2, v103, v3, -v2
	v_cvt_f64_f32_e32 v[2:3], v2
	v_mad_u64_u32 v[9:10], s[2:3], s11, v198, v[6:7]
	s_mov_b32 s2, 0x16f26017
	s_mov_b32 s3, 0x3f56f260
	v_mul_f64 v[6:7], v[7:8], s[2:3]
	v_mad_u64_u32 v[10:11], s[4:5], s8, v130, 0
	v_mov_b32_e32 v31, v9
	v_mul_f64 v[2:3], v[2:3], s[2:3]
	s_sub_i32 s7, s7, s8
	s_add_i32 s7, s7, s6
	s_mul_i32 s6, s8, 0xfffffe57
	v_cvt_f32_f64_e32 v12, v[6:7]
	v_mov_b32_e32 v6, v11
	v_mad_u64_u32 v[14:15], s[4:5], s9, v130, v[6:7]
	v_add_u32_e32 v6, 0x400, v129
	ds_read2_b64 v[6:9], v6 offset0:110 offset1:161
	v_mov_b32_e32 v11, v14
	v_cvt_f32_f64_e32 v13, v[2:3]
	v_lshlrev_b64 v[2:3], 3, v[30:31]
	v_lshlrev_b64 v[10:11], 3, v[10:11]
	s_waitcnt lgkmcnt(0)
	v_mul_f32_e32 v14, v102, v7
	v_fmac_f32_e32 v14, v101, v6
	v_mul_f32_e32 v6, v102, v6
	v_fma_f32 v6, v101, v7, -v6
	v_cvt_f64_f32_e32 v[14:15], v14
	v_cvt_f64_f32_e32 v[6:7], v6
	v_add_co_u32_e32 v17, vcc, s12, v2
	v_addc_co_u32_e32 v16, vcc, v16, v3, vcc
	v_mul_f64 v[2:3], v[14:15], s[2:3]
	v_mul_f64 v[6:7], v[6:7], s[2:3]
	v_add_co_u32_e32 v14, vcc, v17, v10
	v_addc_co_u32_e32 v15, vcc, v16, v11, vcc
	global_store_dwordx2 v[14:15], v[12:13], off
	ds_read2_b64 v[10:13], v44 offset0:92 offset1:143
	v_cvt_f32_f64_e32 v2, v[2:3]
	v_cvt_f32_f64_e32 v3, v[6:7]
	v_mul_f32_e32 v16, v100, v5
	v_fmac_f32_e32 v16, v99, v4
	s_waitcnt lgkmcnt(0)
	v_mul_f32_e32 v6, v98, v11
	v_fmac_f32_e32 v6, v97, v10
	v_cvt_f64_f32_e32 v[6:7], v6
	v_mul_f32_e32 v10, v98, v10
	v_fma_f32 v10, v97, v11, -v10
	v_cvt_f64_f32_e32 v[10:11], v10
	v_mul_f64 v[6:7], v[6:7], s[2:3]
	v_mul_f32_e32 v4, v100, v4
	s_mul_i32 s4, s9, 0xee
	s_mul_hi_u32 s5, s8, 0xee
	v_fma_f32 v4, v99, v5, -v4
	s_add_i32 s5, s5, s4
	s_mul_i32 s4, s8, 0xee
	v_mul_f64 v[10:11], v[10:11], s[2:3]
	v_cvt_f64_f32_e32 v[16:17], v16
	v_cvt_f64_f32_e32 v[4:5], v4
	s_lshl_b64 s[4:5], s[4:5], 3
	v_mov_b32_e32 v18, s5
	v_add_co_u32_e32 v14, vcc, s4, v14
	v_addc_co_u32_e32 v15, vcc, v15, v18, vcc
	global_store_dwordx2 v[14:15], v[2:3], off
	v_cvt_f32_f64_e32 v2, v[6:7]
	v_mul_f64 v[6:7], v[16:17], s[2:3]
	v_mul_f64 v[4:5], v[4:5], s[2:3]
	v_cvt_f32_f64_e32 v3, v[10:11]
	v_add_co_u32_e32 v10, vcc, s4, v14
	v_addc_co_u32_e32 v11, vcc, v15, v18, vcc
	global_store_dwordx2 v[10:11], v[2:3], off
	v_cvt_f32_f64_e32 v2, v[6:7]
	v_cvt_f32_f64_e32 v3, v[4:5]
	v_mul_f32_e32 v4, v95, v9
	v_mul_f32_e32 v6, v95, v8
	v_fmac_f32_e32 v4, v94, v8
	v_fma_f32 v6, v94, v9, -v6
	v_cvt_f64_f32_e32 v[4:5], v4
	v_cvt_f64_f32_e32 v[6:7], v6
	s_lshl_b64 s[6:7], s[6:7], 3
	v_mov_b32_e32 v16, s7
	v_add_co_u32_e32 v8, vcc, s6, v10
	v_addc_co_u32_e32 v9, vcc, v11, v16, vcc
	global_store_dwordx2 v[8:9], v[2:3], off
	v_mul_f64 v[2:3], v[4:5], s[2:3]
	v_mul_f64 v[4:5], v[6:7], s[2:3]
	v_mul_f32_e32 v6, v93, v13
	v_fmac_f32_e32 v6, v92, v12
	v_cvt_f64_f32_e32 v[6:7], v6
	v_mul_f32_e32 v10, v93, v12
	v_fma_f32 v10, v92, v13, -v10
	v_cvt_f64_f32_e32 v[10:11], v10
	v_mul_f64 v[6:7], v[6:7], s[2:3]
	v_cvt_f32_f64_e32 v12, v[2:3]
	v_cvt_f32_f64_e32 v13, v[4:5]
	v_mul_f64 v[10:11], v[10:11], s[2:3]
	ds_read2_b64 v[2:5], v129 offset0:102 offset1:153
	v_add_co_u32_e32 v14, vcc, s4, v8
	v_addc_co_u32_e32 v15, vcc, v9, v18, vcc
	global_store_dwordx2 v[14:15], v[12:13], off
	v_cvt_f32_f64_e32 v12, v[6:7]
	s_waitcnt lgkmcnt(0)
	v_mul_f32_e32 v6, v91, v3
	v_fmac_f32_e32 v6, v90, v2
	v_mul_f32_e32 v2, v91, v2
	v_cvt_f32_f64_e32 v13, v[10:11]
	v_cvt_f64_f32_e32 v[10:11], v6
	v_fma_f32 v2, v90, v3, -v2
	ds_read2_b64 v[6:9], v1 offset0:84 offset1:135
	v_cvt_f64_f32_e32 v[2:3], v2
	v_add_co_u32_e32 v14, vcc, s4, v14
	v_addc_co_u32_e32 v15, vcc, v15, v18, vcc
	v_mul_f64 v[1:2], v[2:3], s[2:3]
	s_waitcnt lgkmcnt(0)
	v_mul_f32_e32 v3, v89, v7
	v_fmac_f32_e32 v3, v88, v6
	global_store_dwordx2 v[14:15], v[12:13], off
	v_cvt_f64_f32_e32 v[12:13], v3
	v_mul_f32_e32 v3, v89, v6
	v_mul_f64 v[10:11], v[10:11], s[2:3]
	v_fma_f32 v3, v88, v7, -v3
	v_cvt_f64_f32_e32 v[6:7], v3
	v_mul_f64 v[12:13], v[12:13], s[2:3]
	v_add_co_u32_e32 v14, vcc, s6, v14
	v_mul_f64 v[6:7], v[6:7], s[2:3]
	v_addc_co_u32_e32 v15, vcc, v15, v16, vcc
	v_cvt_f32_f64_e32 v10, v[10:11]
	v_cvt_f32_f64_e32 v11, v[1:2]
	ds_read2_b64 v[0:3], v0 offset0:66 offset1:117
	s_movk_i32 s10, 0x1000
	global_store_dwordx2 v[14:15], v[10:11], off
	v_cvt_f32_f64_e32 v11, v[6:7]
	s_waitcnt lgkmcnt(0)
	v_mul_f32_e32 v6, v87, v1
	v_fmac_f32_e32 v6, v86, v0
	v_mul_f32_e32 v0, v87, v0
	v_fma_f32 v0, v86, v1, -v0
	v_cvt_f64_f32_e32 v[6:7], v6
	v_cvt_f64_f32_e32 v[0:1], v0
	v_cvt_f32_f64_e32 v10, v[12:13]
	v_add_co_u32_e32 v12, vcc, s4, v14
	v_mul_f32_e32 v14, v85, v5
	v_fmac_f32_e32 v14, v84, v4
	v_mul_f32_e32 v4, v85, v4
	v_fma_f32 v4, v84, v5, -v4
	v_mul_f64 v[6:7], v[6:7], s[2:3]
	v_mul_f64 v[0:1], v[0:1], s[2:3]
	v_cvt_f64_f32_e32 v[4:5], v4
	v_addc_co_u32_e32 v13, vcc, v15, v18, vcc
	v_cvt_f64_f32_e32 v[14:15], v14
	v_mul_f64 v[4:5], v[4:5], s[2:3]
	global_store_dwordx2 v[12:13], v[10:11], off
	v_cvt_f32_f64_e32 v6, v[6:7]
	v_mul_f64 v[10:11], v[14:15], s[2:3]
	v_cvt_f32_f64_e32 v7, v[0:1]
	v_add_co_u32_e32 v0, vcc, s4, v12
	v_addc_co_u32_e32 v1, vcc, v13, v18, vcc
	global_store_dwordx2 v[0:1], v[6:7], off
	v_cvt_f32_f64_e32 v7, v[4:5]
	v_mul_f32_e32 v4, v83, v9
	v_fmac_f32_e32 v4, v82, v8
	v_mul_f32_e32 v8, v83, v8
	v_fma_f32 v8, v82, v9, -v8
	v_cvt_f64_f32_e32 v[4:5], v4
	v_cvt_f64_f32_e32 v[8:9], v8
	v_cvt_f32_f64_e32 v6, v[10:11]
	v_mul_f32_e32 v10, v81, v3
	v_fmac_f32_e32 v10, v80, v2
	v_mul_f32_e32 v2, v81, v2
	v_fma_f32 v2, v80, v3, -v2
	v_mul_f64 v[4:5], v[4:5], s[2:3]
	v_mul_f64 v[8:9], v[8:9], s[2:3]
	v_cvt_f64_f32_e32 v[10:11], v10
	v_cvt_f64_f32_e32 v[2:3], v2
	v_add_co_u32_e32 v0, vcc, s6, v0
	v_addc_co_u32_e32 v1, vcc, v1, v16, vcc
	global_store_dwordx2 v[0:1], v[6:7], off
	v_mul_f64 v[6:7], v[10:11], s[2:3]
	v_mul_f64 v[2:3], v[2:3], s[2:3]
	v_cvt_f32_f64_e32 v4, v[4:5]
	v_cvt_f32_f64_e32 v5, v[8:9]
	v_add_co_u32_e32 v0, vcc, s4, v0
	v_addc_co_u32_e32 v1, vcc, v1, v18, vcc
	global_store_dwordx2 v[0:1], v[4:5], off
	v_cvt_f32_f64_e32 v4, v[6:7]
	v_cvt_f32_f64_e32 v5, v[2:3]
	v_add_co_u32_e32 v0, vcc, s4, v0
	v_addc_co_u32_e32 v1, vcc, v1, v18, vcc
	global_store_dwordx2 v[0:1], v[4:5], off
	s_and_b64 exec, exec, s[0:1]
	s_cbranch_execz .LBB0_23
; %bb.22:
	global_load_dwordx2 v[6:7], v[78:79], off offset:1632
	v_add_u32_e32 v2, 0x600, v129
	ds_read2_b64 v[2:5], v2 offset0:12 offset1:250
	v_add_co_u32_e32 v0, vcc, s6, v0
	s_waitcnt vmcnt(0) lgkmcnt(0)
	v_mul_f32_e32 v8, v3, v7
	v_mul_f32_e32 v7, v2, v7
	v_fmac_f32_e32 v8, v2, v6
	v_fma_f32 v6, v6, v3, -v7
	v_cvt_f64_f32_e32 v[2:3], v8
	v_cvt_f64_f32_e32 v[6:7], v6
	v_mov_b32_e32 v8, s7
	v_addc_co_u32_e32 v1, vcc, v1, v8, vcc
	v_mul_f64 v[2:3], v[2:3], s[2:3]
	v_mul_f64 v[6:7], v[6:7], s[2:3]
	v_mov_b32_e32 v8, s5
	v_cvt_f32_f64_e32 v2, v[2:3]
	v_cvt_f32_f64_e32 v3, v[6:7]
	global_store_dwordx2 v[0:1], v[2:3], off
	global_load_dwordx2 v[2:3], v[78:79], off offset:3536
	s_waitcnt vmcnt(0)
	v_mul_f32_e32 v6, v5, v3
	v_mul_f32_e32 v3, v4, v3
	v_fmac_f32_e32 v6, v4, v2
	v_fma_f32 v4, v2, v5, -v3
	v_cvt_f64_f32_e32 v[2:3], v6
	v_cvt_f64_f32_e32 v[4:5], v4
	v_add_co_u32_e32 v6, vcc, s10, v78
	v_mul_f64 v[2:3], v[2:3], s[2:3]
	v_mul_f64 v[4:5], v[4:5], s[2:3]
	v_addc_co_u32_e32 v7, vcc, 0, v79, vcc
	v_add_co_u32_e32 v0, vcc, s4, v0
	v_addc_co_u32_e32 v1, vcc, v1, v8, vcc
	v_cvt_f32_f64_e32 v2, v[2:3]
	v_cvt_f32_f64_e32 v3, v[4:5]
	ds_read_b64 v[4:5], v129 offset:5440
	global_store_dwordx2 v[0:1], v[2:3], off
	global_load_dwordx2 v[2:3], v[6:7], off offset:1344
	v_add_co_u32_e32 v0, vcc, s4, v0
	v_addc_co_u32_e32 v1, vcc, v1, v8, vcc
	s_waitcnt vmcnt(0) lgkmcnt(0)
	v_mul_f32_e32 v6, v5, v3
	v_mul_f32_e32 v3, v4, v3
	v_fmac_f32_e32 v6, v4, v2
	v_fma_f32 v4, v2, v5, -v3
	v_cvt_f64_f32_e32 v[2:3], v6
	v_cvt_f64_f32_e32 v[4:5], v4
	v_mul_f64 v[2:3], v[2:3], s[2:3]
	v_mul_f64 v[4:5], v[4:5], s[2:3]
	v_cvt_f32_f64_e32 v2, v[2:3]
	v_cvt_f32_f64_e32 v3, v[4:5]
	global_store_dwordx2 v[0:1], v[2:3], off
.LBB0_23:
	s_endpgm
	.section	.rodata,"a",@progbits
	.p2align	6, 0x0
	.amdhsa_kernel bluestein_single_fwd_len714_dim1_sp_op_CI_CI
		.amdhsa_group_segment_fixed_size 5712
		.amdhsa_private_segment_fixed_size 24
		.amdhsa_kernarg_size 104
		.amdhsa_user_sgpr_count 6
		.amdhsa_user_sgpr_private_segment_buffer 1
		.amdhsa_user_sgpr_dispatch_ptr 0
		.amdhsa_user_sgpr_queue_ptr 0
		.amdhsa_user_sgpr_kernarg_segment_ptr 1
		.amdhsa_user_sgpr_dispatch_id 0
		.amdhsa_user_sgpr_flat_scratch_init 0
		.amdhsa_user_sgpr_private_segment_size 0
		.amdhsa_uses_dynamic_stack 0
		.amdhsa_system_sgpr_private_segment_wavefront_offset 1
		.amdhsa_system_sgpr_workgroup_id_x 1
		.amdhsa_system_sgpr_workgroup_id_y 0
		.amdhsa_system_sgpr_workgroup_id_z 0
		.amdhsa_system_sgpr_workgroup_info 0
		.amdhsa_system_vgpr_workitem_id 0
		.amdhsa_next_free_vgpr 256
		.amdhsa_next_free_sgpr 32
		.amdhsa_reserve_vcc 1
		.amdhsa_reserve_flat_scratch 0
		.amdhsa_float_round_mode_32 0
		.amdhsa_float_round_mode_16_64 0
		.amdhsa_float_denorm_mode_32 3
		.amdhsa_float_denorm_mode_16_64 3
		.amdhsa_dx10_clamp 1
		.amdhsa_ieee_mode 1
		.amdhsa_fp16_overflow 0
		.amdhsa_exception_fp_ieee_invalid_op 0
		.amdhsa_exception_fp_denorm_src 0
		.amdhsa_exception_fp_ieee_div_zero 0
		.amdhsa_exception_fp_ieee_overflow 0
		.amdhsa_exception_fp_ieee_underflow 0
		.amdhsa_exception_fp_ieee_inexact 0
		.amdhsa_exception_int_div_zero 0
	.end_amdhsa_kernel
	.text
.Lfunc_end0:
	.size	bluestein_single_fwd_len714_dim1_sp_op_CI_CI, .Lfunc_end0-bluestein_single_fwd_len714_dim1_sp_op_CI_CI
                                        ; -- End function
	.section	.AMDGPU.csdata,"",@progbits
; Kernel info:
; codeLenInByte = 19476
; NumSgprs: 36
; NumVgprs: 256
; ScratchSize: 24
; MemoryBound: 0
; FloatMode: 240
; IeeeMode: 1
; LDSByteSize: 5712 bytes/workgroup (compile time only)
; SGPRBlocks: 4
; VGPRBlocks: 63
; NumSGPRsForWavesPerEU: 36
; NumVGPRsForWavesPerEU: 256
; Occupancy: 1
; WaveLimiterHint : 1
; COMPUTE_PGM_RSRC2:SCRATCH_EN: 1
; COMPUTE_PGM_RSRC2:USER_SGPR: 6
; COMPUTE_PGM_RSRC2:TRAP_HANDLER: 0
; COMPUTE_PGM_RSRC2:TGID_X_EN: 1
; COMPUTE_PGM_RSRC2:TGID_Y_EN: 0
; COMPUTE_PGM_RSRC2:TGID_Z_EN: 0
; COMPUTE_PGM_RSRC2:TIDIG_COMP_CNT: 0
	.type	__hip_cuid_60939c64bd7b4ac5,@object ; @__hip_cuid_60939c64bd7b4ac5
	.section	.bss,"aw",@nobits
	.globl	__hip_cuid_60939c64bd7b4ac5
__hip_cuid_60939c64bd7b4ac5:
	.byte	0                               ; 0x0
	.size	__hip_cuid_60939c64bd7b4ac5, 1

	.ident	"AMD clang version 19.0.0git (https://github.com/RadeonOpenCompute/llvm-project roc-6.4.0 25133 c7fe45cf4b819c5991fe208aaa96edf142730f1d)"
	.section	".note.GNU-stack","",@progbits
	.addrsig
	.addrsig_sym __hip_cuid_60939c64bd7b4ac5
	.amdgpu_metadata
---
amdhsa.kernels:
  - .args:
      - .actual_access:  read_only
        .address_space:  global
        .offset:         0
        .size:           8
        .value_kind:     global_buffer
      - .actual_access:  read_only
        .address_space:  global
        .offset:         8
        .size:           8
        .value_kind:     global_buffer
      - .actual_access:  read_only
        .address_space:  global
        .offset:         16
        .size:           8
        .value_kind:     global_buffer
      - .actual_access:  read_only
        .address_space:  global
        .offset:         24
        .size:           8
        .value_kind:     global_buffer
      - .actual_access:  read_only
        .address_space:  global
        .offset:         32
        .size:           8
        .value_kind:     global_buffer
      - .offset:         40
        .size:           8
        .value_kind:     by_value
      - .address_space:  global
        .offset:         48
        .size:           8
        .value_kind:     global_buffer
      - .address_space:  global
        .offset:         56
        .size:           8
        .value_kind:     global_buffer
      - .address_space:  global
        .offset:         64
        .size:           8
        .value_kind:     global_buffer
      - .address_space:  global
        .offset:         72
        .size:           8
        .value_kind:     global_buffer
      - .offset:         80
        .size:           4
        .value_kind:     by_value
      - .address_space:  global
        .offset:         88
        .size:           8
        .value_kind:     global_buffer
      - .address_space:  global
        .offset:         96
        .size:           8
        .value_kind:     global_buffer
    .group_segment_fixed_size: 5712
    .kernarg_segment_align: 8
    .kernarg_segment_size: 104
    .language:       OpenCL C
    .language_version:
      - 2
      - 0
    .max_flat_workgroup_size: 51
    .name:           bluestein_single_fwd_len714_dim1_sp_op_CI_CI
    .private_segment_fixed_size: 24
    .sgpr_count:     36
    .sgpr_spill_count: 0
    .symbol:         bluestein_single_fwd_len714_dim1_sp_op_CI_CI.kd
    .uniform_work_group_size: 1
    .uses_dynamic_stack: false
    .vgpr_count:     256
    .vgpr_spill_count: 5
    .wavefront_size: 64
amdhsa.target:   amdgcn-amd-amdhsa--gfx906
amdhsa.version:
  - 1
  - 2
...

	.end_amdgpu_metadata
